;; amdgpu-corpus repo=ROCm/rocSPARSE kind=compiled arch=gfx1250 opt=O3
	.amdgcn_target "amdgcn-amd-amdhsa--gfx1250"
	.amdhsa_code_object_version 6
	.section	.text._ZN9rocsparseL19check_row_ptr_arrayILj256EiiEEvT1_PKT0_P22rocsparse_data_status_,"axG",@progbits,_ZN9rocsparseL19check_row_ptr_arrayILj256EiiEEvT1_PKT0_P22rocsparse_data_status_,comdat
	.globl	_ZN9rocsparseL19check_row_ptr_arrayILj256EiiEEvT1_PKT0_P22rocsparse_data_status_ ; -- Begin function _ZN9rocsparseL19check_row_ptr_arrayILj256EiiEEvT1_PKT0_P22rocsparse_data_status_
	.p2align	8
	.type	_ZN9rocsparseL19check_row_ptr_arrayILj256EiiEEvT1_PKT0_P22rocsparse_data_status_,@function
_ZN9rocsparseL19check_row_ptr_arrayILj256EiiEEvT1_PKT0_P22rocsparse_data_status_: ; @_ZN9rocsparseL19check_row_ptr_arrayILj256EiiEEvT1_PKT0_P22rocsparse_data_status_
; %bb.0:
	s_load_b32 s2, s[0:1], 0x0
	s_bfe_u32 s3, ttmp6, 0x4000c
	s_and_b32 s4, ttmp6, 15
	s_add_co_i32 s3, s3, 1
	s_getreg_b32 s5, hwreg(HW_REG_IB_STS2, 6, 4)
	s_mul_i32 s3, ttmp9, s3
	s_delay_alu instid0(SALU_CYCLE_1) | instskip(SKIP_2) | instid1(SALU_CYCLE_1)
	s_add_co_i32 s4, s4, s3
	s_cmp_eq_u32 s5, 0
	s_cselect_b32 s3, ttmp9, s4
	v_lshl_or_b32 v0, s3, 8, v0
	s_wait_kmcnt 0x0
	s_delay_alu instid0(VALU_DEP_1)
	v_cmp_gt_i32_e32 vcc_lo, s2, v0
	s_and_saveexec_b32 s2, vcc_lo
	s_cbranch_execz .LBB0_3
; %bb.1:
	s_load_b64 s[2:3], s[0:1], 0x8
	v_ashrrev_i32_e32 v1, 31, v0
	s_wait_kmcnt 0x0
	s_delay_alu instid0(VALU_DEP_1)
	v_lshl_add_u64 v[0:1], v[0:1], 2, s[2:3]
	s_load_b32 s2, s[2:3], 0x0
	global_load_b64 v[0:1], v[0:1], off
	s_wait_loadcnt 0x0
	s_wait_kmcnt 0x0
	v_max_i32_e32 v2, s2, v0
	v_cmp_gt_i32_e32 vcc_lo, s2, v0
	s_delay_alu instid0(VALU_DEP_2) | instskip(SKIP_1) | instid1(SALU_CYCLE_1)
	v_cmp_gt_i32_e64 s2, v2, v1
	s_or_b32 s2, vcc_lo, s2
	s_and_b32 exec_lo, exec_lo, s2
	s_cbranch_execz .LBB0_3
; %bb.2:
	s_load_b64 s[0:1], s[0:1], 0x10
	v_dual_mov_b32 v0, 0 :: v_dual_mov_b32 v1, 3
	s_wait_kmcnt 0x0
	global_store_b32 v0, v1, s[0:1]
.LBB0_3:
	s_endpgm
	.section	.rodata,"a",@progbits
	.p2align	6, 0x0
	.amdhsa_kernel _ZN9rocsparseL19check_row_ptr_arrayILj256EiiEEvT1_PKT0_P22rocsparse_data_status_
		.amdhsa_group_segment_fixed_size 0
		.amdhsa_private_segment_fixed_size 0
		.amdhsa_kernarg_size 24
		.amdhsa_user_sgpr_count 2
		.amdhsa_user_sgpr_dispatch_ptr 0
		.amdhsa_user_sgpr_queue_ptr 0
		.amdhsa_user_sgpr_kernarg_segment_ptr 1
		.amdhsa_user_sgpr_dispatch_id 0
		.amdhsa_user_sgpr_kernarg_preload_length 0
		.amdhsa_user_sgpr_kernarg_preload_offset 0
		.amdhsa_user_sgpr_private_segment_size 0
		.amdhsa_wavefront_size32 1
		.amdhsa_uses_dynamic_stack 0
		.amdhsa_enable_private_segment 0
		.amdhsa_system_sgpr_workgroup_id_x 1
		.amdhsa_system_sgpr_workgroup_id_y 0
		.amdhsa_system_sgpr_workgroup_id_z 0
		.amdhsa_system_sgpr_workgroup_info 0
		.amdhsa_system_vgpr_workitem_id 0
		.amdhsa_next_free_vgpr 3
		.amdhsa_next_free_sgpr 6
		.amdhsa_named_barrier_count 0
		.amdhsa_reserve_vcc 1
		.amdhsa_float_round_mode_32 0
		.amdhsa_float_round_mode_16_64 0
		.amdhsa_float_denorm_mode_32 3
		.amdhsa_float_denorm_mode_16_64 3
		.amdhsa_fp16_overflow 0
		.amdhsa_memory_ordered 1
		.amdhsa_forward_progress 1
		.amdhsa_inst_pref_size 2
		.amdhsa_round_robin_scheduling 0
		.amdhsa_exception_fp_ieee_invalid_op 0
		.amdhsa_exception_fp_denorm_src 0
		.amdhsa_exception_fp_ieee_div_zero 0
		.amdhsa_exception_fp_ieee_overflow 0
		.amdhsa_exception_fp_ieee_underflow 0
		.amdhsa_exception_fp_ieee_inexact 0
		.amdhsa_exception_int_div_zero 0
	.end_amdhsa_kernel
	.section	.text._ZN9rocsparseL19check_row_ptr_arrayILj256EiiEEvT1_PKT0_P22rocsparse_data_status_,"axG",@progbits,_ZN9rocsparseL19check_row_ptr_arrayILj256EiiEEvT1_PKT0_P22rocsparse_data_status_,comdat
.Lfunc_end0:
	.size	_ZN9rocsparseL19check_row_ptr_arrayILj256EiiEEvT1_PKT0_P22rocsparse_data_status_, .Lfunc_end0-_ZN9rocsparseL19check_row_ptr_arrayILj256EiiEEvT1_PKT0_P22rocsparse_data_status_
                                        ; -- End function
	.set _ZN9rocsparseL19check_row_ptr_arrayILj256EiiEEvT1_PKT0_P22rocsparse_data_status_.num_vgpr, 3
	.set _ZN9rocsparseL19check_row_ptr_arrayILj256EiiEEvT1_PKT0_P22rocsparse_data_status_.num_agpr, 0
	.set _ZN9rocsparseL19check_row_ptr_arrayILj256EiiEEvT1_PKT0_P22rocsparse_data_status_.numbered_sgpr, 6
	.set _ZN9rocsparseL19check_row_ptr_arrayILj256EiiEEvT1_PKT0_P22rocsparse_data_status_.num_named_barrier, 0
	.set _ZN9rocsparseL19check_row_ptr_arrayILj256EiiEEvT1_PKT0_P22rocsparse_data_status_.private_seg_size, 0
	.set _ZN9rocsparseL19check_row_ptr_arrayILj256EiiEEvT1_PKT0_P22rocsparse_data_status_.uses_vcc, 1
	.set _ZN9rocsparseL19check_row_ptr_arrayILj256EiiEEvT1_PKT0_P22rocsparse_data_status_.uses_flat_scratch, 0
	.set _ZN9rocsparseL19check_row_ptr_arrayILj256EiiEEvT1_PKT0_P22rocsparse_data_status_.has_dyn_sized_stack, 0
	.set _ZN9rocsparseL19check_row_ptr_arrayILj256EiiEEvT1_PKT0_P22rocsparse_data_status_.has_recursion, 0
	.set _ZN9rocsparseL19check_row_ptr_arrayILj256EiiEEvT1_PKT0_P22rocsparse_data_status_.has_indirect_call, 0
	.section	.AMDGPU.csdata,"",@progbits
; Kernel info:
; codeLenInByte = 200
; TotalNumSgprs: 8
; NumVgprs: 3
; ScratchSize: 0
; MemoryBound: 0
; FloatMode: 240
; IeeeMode: 1
; LDSByteSize: 0 bytes/workgroup (compile time only)
; SGPRBlocks: 0
; VGPRBlocks: 0
; NumSGPRsForWavesPerEU: 8
; NumVGPRsForWavesPerEU: 3
; NamedBarCnt: 0
; Occupancy: 16
; WaveLimiterHint : 0
; COMPUTE_PGM_RSRC2:SCRATCH_EN: 0
; COMPUTE_PGM_RSRC2:USER_SGPR: 2
; COMPUTE_PGM_RSRC2:TRAP_HANDLER: 0
; COMPUTE_PGM_RSRC2:TGID_X_EN: 1
; COMPUTE_PGM_RSRC2:TGID_Y_EN: 0
; COMPUTE_PGM_RSRC2:TGID_Z_EN: 0
; COMPUTE_PGM_RSRC2:TIDIG_COMP_CNT: 0
	.section	.text._ZN9rocsparseL20shift_offsets_kernelILj512EiiEEvT1_PKT0_PS2_,"axG",@progbits,_ZN9rocsparseL20shift_offsets_kernelILj512EiiEEvT1_PKT0_PS2_,comdat
	.globl	_ZN9rocsparseL20shift_offsets_kernelILj512EiiEEvT1_PKT0_PS2_ ; -- Begin function _ZN9rocsparseL20shift_offsets_kernelILj512EiiEEvT1_PKT0_PS2_
	.p2align	8
	.type	_ZN9rocsparseL20shift_offsets_kernelILj512EiiEEvT1_PKT0_PS2_,@function
_ZN9rocsparseL20shift_offsets_kernelILj512EiiEEvT1_PKT0_PS2_: ; @_ZN9rocsparseL20shift_offsets_kernelILj512EiiEEvT1_PKT0_PS2_
; %bb.0:
	s_load_b32 s2, s[0:1], 0x0
	s_bfe_u32 s3, ttmp6, 0x4000c
	s_and_b32 s4, ttmp6, 15
	s_add_co_i32 s3, s3, 1
	s_getreg_b32 s5, hwreg(HW_REG_IB_STS2, 6, 4)
	s_mul_i32 s3, ttmp9, s3
	s_delay_alu instid0(SALU_CYCLE_1) | instskip(SKIP_2) | instid1(SALU_CYCLE_1)
	s_add_co_i32 s4, s4, s3
	s_cmp_eq_u32 s5, 0
	s_cselect_b32 s3, ttmp9, s4
	v_lshl_or_b32 v0, s3, 9, v0
	s_wait_kmcnt 0x0
	s_delay_alu instid0(VALU_DEP_1)
	v_cmp_gt_i32_e32 vcc_lo, s2, v0
	s_and_saveexec_b32 s2, vcc_lo
	s_cbranch_execz .LBB1_2
; %bb.1:
	s_load_b128 s[4:7], s[0:1], 0x8
	s_wait_kmcnt 0x0
	global_load_b32 v1, v0, s[4:5] scale_offset
	s_load_b32 s0, s[4:5], 0x0
	s_wait_loadcnt 0x0
	s_wait_kmcnt 0x0
	v_subrev_nc_u32_e32 v1, s0, v1
	global_store_b32 v0, v1, s[6:7] scale_offset
.LBB1_2:
	s_endpgm
	.section	.rodata,"a",@progbits
	.p2align	6, 0x0
	.amdhsa_kernel _ZN9rocsparseL20shift_offsets_kernelILj512EiiEEvT1_PKT0_PS2_
		.amdhsa_group_segment_fixed_size 0
		.amdhsa_private_segment_fixed_size 0
		.amdhsa_kernarg_size 24
		.amdhsa_user_sgpr_count 2
		.amdhsa_user_sgpr_dispatch_ptr 0
		.amdhsa_user_sgpr_queue_ptr 0
		.amdhsa_user_sgpr_kernarg_segment_ptr 1
		.amdhsa_user_sgpr_dispatch_id 0
		.amdhsa_user_sgpr_kernarg_preload_length 0
		.amdhsa_user_sgpr_kernarg_preload_offset 0
		.amdhsa_user_sgpr_private_segment_size 0
		.amdhsa_wavefront_size32 1
		.amdhsa_uses_dynamic_stack 0
		.amdhsa_enable_private_segment 0
		.amdhsa_system_sgpr_workgroup_id_x 1
		.amdhsa_system_sgpr_workgroup_id_y 0
		.amdhsa_system_sgpr_workgroup_id_z 0
		.amdhsa_system_sgpr_workgroup_info 0
		.amdhsa_system_vgpr_workitem_id 0
		.amdhsa_next_free_vgpr 2
		.amdhsa_next_free_sgpr 8
		.amdhsa_named_barrier_count 0
		.amdhsa_reserve_vcc 1
		.amdhsa_float_round_mode_32 0
		.amdhsa_float_round_mode_16_64 0
		.amdhsa_float_denorm_mode_32 3
		.amdhsa_float_denorm_mode_16_64 3
		.amdhsa_fp16_overflow 0
		.amdhsa_memory_ordered 1
		.amdhsa_forward_progress 1
		.amdhsa_inst_pref_size 2
		.amdhsa_round_robin_scheduling 0
		.amdhsa_exception_fp_ieee_invalid_op 0
		.amdhsa_exception_fp_denorm_src 0
		.amdhsa_exception_fp_ieee_div_zero 0
		.amdhsa_exception_fp_ieee_overflow 0
		.amdhsa_exception_fp_ieee_underflow 0
		.amdhsa_exception_fp_ieee_inexact 0
		.amdhsa_exception_int_div_zero 0
	.end_amdhsa_kernel
	.section	.text._ZN9rocsparseL20shift_offsets_kernelILj512EiiEEvT1_PKT0_PS2_,"axG",@progbits,_ZN9rocsparseL20shift_offsets_kernelILj512EiiEEvT1_PKT0_PS2_,comdat
.Lfunc_end1:
	.size	_ZN9rocsparseL20shift_offsets_kernelILj512EiiEEvT1_PKT0_PS2_, .Lfunc_end1-_ZN9rocsparseL20shift_offsets_kernelILj512EiiEEvT1_PKT0_PS2_
                                        ; -- End function
	.set _ZN9rocsparseL20shift_offsets_kernelILj512EiiEEvT1_PKT0_PS2_.num_vgpr, 2
	.set _ZN9rocsparseL20shift_offsets_kernelILj512EiiEEvT1_PKT0_PS2_.num_agpr, 0
	.set _ZN9rocsparseL20shift_offsets_kernelILj512EiiEEvT1_PKT0_PS2_.numbered_sgpr, 8
	.set _ZN9rocsparseL20shift_offsets_kernelILj512EiiEEvT1_PKT0_PS2_.num_named_barrier, 0
	.set _ZN9rocsparseL20shift_offsets_kernelILj512EiiEEvT1_PKT0_PS2_.private_seg_size, 0
	.set _ZN9rocsparseL20shift_offsets_kernelILj512EiiEEvT1_PKT0_PS2_.uses_vcc, 1
	.set _ZN9rocsparseL20shift_offsets_kernelILj512EiiEEvT1_PKT0_PS2_.uses_flat_scratch, 0
	.set _ZN9rocsparseL20shift_offsets_kernelILj512EiiEEvT1_PKT0_PS2_.has_dyn_sized_stack, 0
	.set _ZN9rocsparseL20shift_offsets_kernelILj512EiiEEvT1_PKT0_PS2_.has_recursion, 0
	.set _ZN9rocsparseL20shift_offsets_kernelILj512EiiEEvT1_PKT0_PS2_.has_indirect_call, 0
	.section	.AMDGPU.csdata,"",@progbits
; Kernel info:
; codeLenInByte = 136
; TotalNumSgprs: 10
; NumVgprs: 2
; ScratchSize: 0
; MemoryBound: 0
; FloatMode: 240
; IeeeMode: 1
; LDSByteSize: 0 bytes/workgroup (compile time only)
; SGPRBlocks: 0
; VGPRBlocks: 0
; NumSGPRsForWavesPerEU: 10
; NumVGPRsForWavesPerEU: 2
; NamedBarCnt: 0
; Occupancy: 16
; WaveLimiterHint : 0
; COMPUTE_PGM_RSRC2:SCRATCH_EN: 0
; COMPUTE_PGM_RSRC2:USER_SGPR: 2
; COMPUTE_PGM_RSRC2:TRAP_HANDLER: 0
; COMPUTE_PGM_RSRC2:TGID_X_EN: 1
; COMPUTE_PGM_RSRC2:TGID_Y_EN: 0
; COMPUTE_PGM_RSRC2:TGID_Z_EN: 0
; COMPUTE_PGM_RSRC2:TIDIG_COMP_CNT: 0
	.section	.text._ZN9rocsparseL23check_matrix_csr_deviceILj256ELj4EfiiEEvT3_S1_T2_PKT1_PKS2_PKS1_S9_21rocsparse_index_base_22rocsparse_matrix_type_20rocsparse_fill_mode_23rocsparse_storage_mode_P22rocsparse_data_status_,"axG",@progbits,_ZN9rocsparseL23check_matrix_csr_deviceILj256ELj4EfiiEEvT3_S1_T2_PKT1_PKS2_PKS1_S9_21rocsparse_index_base_22rocsparse_matrix_type_20rocsparse_fill_mode_23rocsparse_storage_mode_P22rocsparse_data_status_,comdat
	.globl	_ZN9rocsparseL23check_matrix_csr_deviceILj256ELj4EfiiEEvT3_S1_T2_PKT1_PKS2_PKS1_S9_21rocsparse_index_base_22rocsparse_matrix_type_20rocsparse_fill_mode_23rocsparse_storage_mode_P22rocsparse_data_status_ ; -- Begin function _ZN9rocsparseL23check_matrix_csr_deviceILj256ELj4EfiiEEvT3_S1_T2_PKT1_PKS2_PKS1_S9_21rocsparse_index_base_22rocsparse_matrix_type_20rocsparse_fill_mode_23rocsparse_storage_mode_P22rocsparse_data_status_
	.p2align	8
	.type	_ZN9rocsparseL23check_matrix_csr_deviceILj256ELj4EfiiEEvT3_S1_T2_PKT1_PKS2_PKS1_S9_21rocsparse_index_base_22rocsparse_matrix_type_20rocsparse_fill_mode_23rocsparse_storage_mode_P22rocsparse_data_status_,@function
_ZN9rocsparseL23check_matrix_csr_deviceILj256ELj4EfiiEEvT3_S1_T2_PKT1_PKS2_PKS1_S9_21rocsparse_index_base_22rocsparse_matrix_type_20rocsparse_fill_mode_23rocsparse_storage_mode_P22rocsparse_data_status_: ; @_ZN9rocsparseL23check_matrix_csr_deviceILj256ELj4EfiiEEvT3_S1_T2_PKT1_PKS2_PKS1_S9_21rocsparse_index_base_22rocsparse_matrix_type_20rocsparse_fill_mode_23rocsparse_storage_mode_P22rocsparse_data_status_
; %bb.0:
	s_bfe_u32 s2, ttmp6, 0x4000c
	s_load_b64 s[12:13], s[0:1], 0x0
	s_add_co_i32 s2, s2, 1
	s_and_b32 s3, ttmp6, 15
	s_mul_i32 s2, ttmp9, s2
	s_getreg_b32 s4, hwreg(HW_REG_IB_STS2, 6, 4)
	s_add_co_i32 s3, s3, s2
	s_cmp_eq_u32 s4, 0
	s_cselect_b32 s2, ttmp9, s3
	s_delay_alu instid0(SALU_CYCLE_1) | instskip(SKIP_1) | instid1(VALU_DEP_1)
	v_lshl_or_b32 v1, s2, 8, v0
	s_mov_b32 s2, exec_lo
	v_lshrrev_b32_e32 v2, 2, v1
	s_wait_kmcnt 0x0
	s_delay_alu instid0(VALU_DEP_1)
	v_cmpx_gt_i32_e64 s12, v2
	s_cbranch_execz .LBB2_31
; %bb.1:
	s_load_b64 s[2:3], s[0:1], 0x18
	v_dual_lshlrev_b32 v1, 2, v2 :: v_dual_mov_b32 v5, 3
	s_wait_kmcnt 0x0
	global_load_b64 v[6:7], v1, s[2:3]
	s_wait_xcnt 0x0
	s_load_b32 s2, s[2:3], 0x0
	s_wait_loadcnt 0x0
	s_wait_kmcnt 0x0
	v_subrev_nc_u32_e32 v3, s2, v7
	v_subrev_nc_u32_e32 v4, s2, v6
	v_cmp_lt_i32_e64 s2, v7, v6
	s_delay_alu instid0(VALU_DEP_3) | instskip(NEXT) | instid1(VALU_DEP_3)
	v_cmp_gt_i32_e32 vcc_lo, 0, v3
	v_cmp_lt_i32_e64 s3, -1, v4
	s_or_b32 s2, vcc_lo, s2
	s_delay_alu instid0(SALU_CYCLE_1) | instskip(SKIP_2) | instid1(SALU_CYCLE_1)
	s_xor_b32 s4, s2, -1
	s_mov_b32 s2, -1
	s_and_b32 s3, s3, s4
	s_and_saveexec_b32 s12, s3
	s_cbranch_execz .LBB2_29
; %bb.2:
	v_dual_mov_b32 v5, 3 :: v_dual_bitop2_b32 v0, 3, v0 bitop3:0x40
	s_mov_b32 s2, 0
	s_mov_b32 s16, exec_lo
	s_delay_alu instid0(VALU_DEP_1) | instskip(NEXT) | instid1(VALU_DEP_1)
	v_add_nc_u32_e32 v0, v4, v0
	v_cmpx_lt_u32_e64 v0, v3
	s_cbranch_execz .LBB2_28
; %bb.3:
	s_clause 0x1
	s_load_b256 s[4:11], s[0:1], 0x20
	s_load_b64 s[14:15], s[0:1], 0x10
                                        ; implicit-def: $sgpr18
                                        ; implicit-def: $sgpr19
                                        ; implicit-def: $sgpr20
	s_wait_kmcnt 0x0
	s_cmp_lg_u32 s9, 0
	s_cselect_b32 s9, -1, 0
	s_cmp_lg_u32 s10, 0
	s_cselect_b32 s10, -1, 0
	s_cmp_lg_u32 s11, 0
	s_mov_b32 s11, 0
	s_cselect_b32 s17, -1, 0
	s_branch .LBB2_10
.LBB2_4:                                ;   in Loop: Header=BB2_10 Depth=1
	s_or_b32 exec_lo, exec_lo, s27
	s_delay_alu instid0(SALU_CYCLE_1)
	s_or_not1_b32 s28, s3, exec_lo
	s_or_not1_b32 s2, s25, exec_lo
.LBB2_5:                                ;   in Loop: Header=BB2_10 Depth=1
	s_or_b32 exec_lo, exec_lo, s26
	s_delay_alu instid0(SALU_CYCLE_1)
	s_or_not1_b32 s3, s28, exec_lo
	s_or_not1_b32 s2, s2, exec_lo
.LBB2_6:                                ;   in Loop: Header=BB2_10 Depth=1
	s_or_b32 exec_lo, exec_lo, s24
	s_delay_alu instid0(SALU_CYCLE_1)
	s_or_not1_b32 s3, s3, exec_lo
	s_or_not1_b32 s2, s2, exec_lo
.LBB2_7:                                ;   in Loop: Header=BB2_10 Depth=1
	s_or_b32 exec_lo, exec_lo, s23
	s_delay_alu instid0(SALU_CYCLE_1)
	s_or_not1_b32 s3, s3, exec_lo
	s_or_not1_b32 s2, s2, exec_lo
.LBB2_8:                                ;   in Loop: Header=BB2_10 Depth=1
	s_or_b32 exec_lo, exec_lo, s22
	s_delay_alu instid0(SALU_CYCLE_1)
	s_and_not1_b32 s20, s20, exec_lo
	s_and_b32 s3, s3, exec_lo
	s_and_not1_b32 s19, s19, exec_lo
	s_and_b32 s2, s2, exec_lo
	s_or_b32 s20, s20, s3
	s_or_b32 s19, s19, s2
.LBB2_9:                                ;   in Loop: Header=BB2_10 Depth=1
	s_or_b32 exec_lo, exec_lo, s21
	s_delay_alu instid0(SALU_CYCLE_1) | instskip(NEXT) | instid1(SALU_CYCLE_1)
	s_and_b32 s2, exec_lo, s19
	s_or_b32 s11, s2, s11
	s_and_not1_b32 s2, s18, exec_lo
	s_and_b32 s3, s20, exec_lo
	s_delay_alu instid0(SALU_CYCLE_1)
	s_or_b32 s18, s2, s3
	s_and_not1_b32 exec_lo, exec_lo, s11
	s_cbranch_execz .LBB2_27
.LBB2_10:                               ; =>This Inner Loop Header: Depth=1
	global_load_b32 v6, v0, s[4:5] scale_offset
	v_mov_b32_e32 v5, 4
	s_or_b32 s20, s20, exec_lo
	s_or_b32 s19, s19, exec_lo
	s_wait_loadcnt 0x0
	v_subrev_nc_u32_e32 v7, s8, v6
	s_delay_alu instid0(VALU_DEP_1) | instskip(SKIP_2) | instid1(SALU_CYCLE_1)
	v_cmp_lt_i32_e32 vcc_lo, -1, v7
	v_cmp_gt_i32_e64 s2, s13, v7
	s_and_b32 s2, vcc_lo, s2
	s_and_saveexec_b32 s21, s2
	s_cbranch_execz .LBB2_9
; %bb.11:                               ;   in Loop: Header=BB2_10 Depth=1
	v_cmp_le_i32_e64 s25, v0, v4
	v_dual_ashrrev_i32 v1, 31, v0 :: v_dual_mov_b32 v5, 4
	s_mov_b32 s22, exec_lo
	s_mov_b32 s23, s25
	v_cmpx_gt_i32_e64 v0, v4
	s_cbranch_execz .LBB2_13
; %bb.12:                               ;   in Loop: Header=BB2_10 Depth=1
	v_lshl_add_u64 v[8:9], v[0:1], 2, s[6:7]
	global_load_b64 v[8:9], v[8:9], off offset:-4
	s_wait_loadcnt 0x0
	v_subrev_nc_u32_e32 v5, s8, v8
	v_cmp_ne_u32_e64 s3, v9, v8
	s_delay_alu instid0(VALU_DEP_2) | instskip(SKIP_3) | instid1(SALU_CYCLE_1)
	v_cmp_lt_i32_e32 vcc_lo, -1, v5
	v_cmp_gt_i32_e64 s2, s13, v5
	v_mov_b32_e32 v5, 5
	s_and_b32 s2, vcc_lo, s2
	s_xor_b32 s2, s2, -1
	s_delay_alu instid0(SALU_CYCLE_1) | instskip(SKIP_2) | instid1(SALU_CYCLE_1)
	s_or_b32 s2, s3, s2
	s_and_not1_b32 s3, s25, exec_lo
	s_and_b32 s2, s2, exec_lo
	s_or_b32 s23, s3, s2
.LBB2_13:                               ;   in Loop: Header=BB2_10 Depth=1
	s_or_b32 exec_lo, exec_lo, s22
	s_mov_b32 s2, -1
	s_mov_b32 s3, -1
	s_and_saveexec_b32 s22, s23
	s_cbranch_execz .LBB2_8
; %bb.14:                               ;   in Loop: Header=BB2_10 Depth=1
	v_lshl_add_u64 v[8:9], v[0:1], 2, s[14:15]
	v_mov_b32_e32 v5, 1
	s_mov_b32 s23, exec_lo
	global_load_b32 v8, v[8:9], off
	s_wait_loadcnt 0x0
	v_cmpx_neq_f32_e32 0x7f800000, v8
	s_cbranch_execz .LBB2_7
; %bb.15:                               ;   in Loop: Header=BB2_10 Depth=1
	v_mov_b32_e32 v5, 2
	s_mov_b32 s24, exec_lo
	v_cmpx_o_f32_e32 v8, v8
	s_cbranch_execz .LBB2_6
; %bb.16:                               ;   in Loop: Header=BB2_10 Depth=1
	s_and_b32 vcc_lo, exec_lo, s9
	s_cbranch_vccz .LBB2_19
; %bb.17:                               ;   in Loop: Header=BB2_10 Depth=1
	s_and_b32 vcc_lo, exec_lo, s10
	s_cbranch_vccz .LBB2_20
; %bb.18:                               ;   in Loop: Header=BB2_10 Depth=1
	v_cmp_le_i32_e32 vcc_lo, v2, v7
	s_mov_b32 s3, 7
	s_and_b32 s27, vcc_lo, exec_lo
	s_cbranch_execz .LBB2_21
	s_branch .LBB2_22
.LBB2_19:                               ;   in Loop: Header=BB2_10 Depth=1
	s_mov_b32 s3, 2
	s_mov_b32 s27, -1
	s_branch .LBB2_22
.LBB2_20:                               ;   in Loop: Header=BB2_10 Depth=1
	s_mov_b32 s27, 0
	s_mov_b32 s3, 2
.LBB2_21:                               ;   in Loop: Header=BB2_10 Depth=1
	v_cmp_ge_i32_e32 vcc_lo, v2, v7
	s_and_not1_b32 s26, s27, exec_lo
	s_mov_b32 s3, 7
	s_and_b32 s27, vcc_lo, exec_lo
	s_delay_alu instid0(SALU_CYCLE_1)
	s_or_b32 s27, s26, s27
.LBB2_22:                               ;   in Loop: Header=BB2_10 Depth=1
	v_mov_b32_e32 v5, s3
	s_mov_b32 s28, -1
	s_and_saveexec_b32 s26, s27
	s_cbranch_execz .LBB2_5
; %bb.23:                               ;   in Loop: Header=BB2_10 Depth=1
	v_mov_b32_e32 v5, s3
	s_nor_b32 s3, s17, s25
	s_mov_b32 s25, -1
	s_and_saveexec_b32 s27, s3
	s_cbranch_execz .LBB2_25
; %bb.24:                               ;   in Loop: Header=BB2_10 Depth=1
	v_lshl_add_u64 v[8:9], v[0:1], 2, s[4:5]
	global_load_b32 v1, v[8:9], off offset:-4
	s_wait_loadcnt 0x0
	v_subrev_nc_u32_e32 v5, s8, v1
	v_cmp_gt_i32_e64 s3, v6, v1
	s_delay_alu instid0(VALU_DEP_2) | instskip(SKIP_3) | instid1(SALU_CYCLE_1)
	v_cmp_lt_i32_e32 vcc_lo, -1, v5
	v_cmp_gt_i32_e64 s2, s13, v5
	v_mov_b32_e32 v5, 6
	s_and_b32 s2, vcc_lo, s2
	s_xor_b32 s2, s2, -1
	s_delay_alu instid0(SALU_CYCLE_1) | instskip(NEXT) | instid1(SALU_CYCLE_1)
	s_or_b32 s2, s3, s2
	s_or_not1_b32 s2, s2, exec_lo
.LBB2_25:                               ;   in Loop: Header=BB2_10 Depth=1
	s_or_b32 exec_lo, exec_lo, s27
	s_mov_b32 s3, -1
	s_and_saveexec_b32 s27, s2
	s_cbranch_execz .LBB2_4
; %bb.26:                               ;   in Loop: Header=BB2_10 Depth=1
	v_add_nc_u32_e32 v0, 4, v0
	s_xor_b32 s3, exec_lo, -1
	s_delay_alu instid0(VALU_DEP_1)
	v_cmp_ge_i32_e32 vcc_lo, v0, v3
	s_or_not1_b32 s25, vcc_lo, exec_lo
	s_branch .LBB2_4
.LBB2_27:
	s_or_b32 exec_lo, exec_lo, s11
	s_delay_alu instid0(SALU_CYCLE_1)
	s_and_b32 s2, s18, exec_lo
.LBB2_28:
	s_or_b32 exec_lo, exec_lo, s16
	s_delay_alu instid0(SALU_CYCLE_1)
	s_or_not1_b32 s2, s2, exec_lo
.LBB2_29:
	s_or_b32 exec_lo, exec_lo, s12
	s_delay_alu instid0(SALU_CYCLE_1)
	s_and_b32 exec_lo, exec_lo, s2
	s_cbranch_execz .LBB2_31
; %bb.30:
	s_load_b64 s[0:1], s[0:1], 0x40
	v_mov_b32_e32 v0, 0
	s_wait_kmcnt 0x0
	global_store_b32 v0, v5, s[0:1]
.LBB2_31:
	s_endpgm
	.section	.rodata,"a",@progbits
	.p2align	6, 0x0
	.amdhsa_kernel _ZN9rocsparseL23check_matrix_csr_deviceILj256ELj4EfiiEEvT3_S1_T2_PKT1_PKS2_PKS1_S9_21rocsparse_index_base_22rocsparse_matrix_type_20rocsparse_fill_mode_23rocsparse_storage_mode_P22rocsparse_data_status_
		.amdhsa_group_segment_fixed_size 0
		.amdhsa_private_segment_fixed_size 0
		.amdhsa_kernarg_size 72
		.amdhsa_user_sgpr_count 2
		.amdhsa_user_sgpr_dispatch_ptr 0
		.amdhsa_user_sgpr_queue_ptr 0
		.amdhsa_user_sgpr_kernarg_segment_ptr 1
		.amdhsa_user_sgpr_dispatch_id 0
		.amdhsa_user_sgpr_kernarg_preload_length 0
		.amdhsa_user_sgpr_kernarg_preload_offset 0
		.amdhsa_user_sgpr_private_segment_size 0
		.amdhsa_wavefront_size32 1
		.amdhsa_uses_dynamic_stack 0
		.amdhsa_enable_private_segment 0
		.amdhsa_system_sgpr_workgroup_id_x 1
		.amdhsa_system_sgpr_workgroup_id_y 0
		.amdhsa_system_sgpr_workgroup_id_z 0
		.amdhsa_system_sgpr_workgroup_info 0
		.amdhsa_system_vgpr_workitem_id 0
		.amdhsa_next_free_vgpr 10
		.amdhsa_next_free_sgpr 29
		.amdhsa_named_barrier_count 0
		.amdhsa_reserve_vcc 1
		.amdhsa_float_round_mode_32 0
		.amdhsa_float_round_mode_16_64 0
		.amdhsa_float_denorm_mode_32 3
		.amdhsa_float_denorm_mode_16_64 3
		.amdhsa_fp16_overflow 0
		.amdhsa_memory_ordered 1
		.amdhsa_forward_progress 1
		.amdhsa_inst_pref_size 8
		.amdhsa_round_robin_scheduling 0
		.amdhsa_exception_fp_ieee_invalid_op 0
		.amdhsa_exception_fp_denorm_src 0
		.amdhsa_exception_fp_ieee_div_zero 0
		.amdhsa_exception_fp_ieee_overflow 0
		.amdhsa_exception_fp_ieee_underflow 0
		.amdhsa_exception_fp_ieee_inexact 0
		.amdhsa_exception_int_div_zero 0
	.end_amdhsa_kernel
	.section	.text._ZN9rocsparseL23check_matrix_csr_deviceILj256ELj4EfiiEEvT3_S1_T2_PKT1_PKS2_PKS1_S9_21rocsparse_index_base_22rocsparse_matrix_type_20rocsparse_fill_mode_23rocsparse_storage_mode_P22rocsparse_data_status_,"axG",@progbits,_ZN9rocsparseL23check_matrix_csr_deviceILj256ELj4EfiiEEvT3_S1_T2_PKT1_PKS2_PKS1_S9_21rocsparse_index_base_22rocsparse_matrix_type_20rocsparse_fill_mode_23rocsparse_storage_mode_P22rocsparse_data_status_,comdat
.Lfunc_end2:
	.size	_ZN9rocsparseL23check_matrix_csr_deviceILj256ELj4EfiiEEvT3_S1_T2_PKT1_PKS2_PKS1_S9_21rocsparse_index_base_22rocsparse_matrix_type_20rocsparse_fill_mode_23rocsparse_storage_mode_P22rocsparse_data_status_, .Lfunc_end2-_ZN9rocsparseL23check_matrix_csr_deviceILj256ELj4EfiiEEvT3_S1_T2_PKT1_PKS2_PKS1_S9_21rocsparse_index_base_22rocsparse_matrix_type_20rocsparse_fill_mode_23rocsparse_storage_mode_P22rocsparse_data_status_
                                        ; -- End function
	.set _ZN9rocsparseL23check_matrix_csr_deviceILj256ELj4EfiiEEvT3_S1_T2_PKT1_PKS2_PKS1_S9_21rocsparse_index_base_22rocsparse_matrix_type_20rocsparse_fill_mode_23rocsparse_storage_mode_P22rocsparse_data_status_.num_vgpr, 10
	.set _ZN9rocsparseL23check_matrix_csr_deviceILj256ELj4EfiiEEvT3_S1_T2_PKT1_PKS2_PKS1_S9_21rocsparse_index_base_22rocsparse_matrix_type_20rocsparse_fill_mode_23rocsparse_storage_mode_P22rocsparse_data_status_.num_agpr, 0
	.set _ZN9rocsparseL23check_matrix_csr_deviceILj256ELj4EfiiEEvT3_S1_T2_PKT1_PKS2_PKS1_S9_21rocsparse_index_base_22rocsparse_matrix_type_20rocsparse_fill_mode_23rocsparse_storage_mode_P22rocsparse_data_status_.numbered_sgpr, 29
	.set _ZN9rocsparseL23check_matrix_csr_deviceILj256ELj4EfiiEEvT3_S1_T2_PKT1_PKS2_PKS1_S9_21rocsparse_index_base_22rocsparse_matrix_type_20rocsparse_fill_mode_23rocsparse_storage_mode_P22rocsparse_data_status_.num_named_barrier, 0
	.set _ZN9rocsparseL23check_matrix_csr_deviceILj256ELj4EfiiEEvT3_S1_T2_PKT1_PKS2_PKS1_S9_21rocsparse_index_base_22rocsparse_matrix_type_20rocsparse_fill_mode_23rocsparse_storage_mode_P22rocsparse_data_status_.private_seg_size, 0
	.set _ZN9rocsparseL23check_matrix_csr_deviceILj256ELj4EfiiEEvT3_S1_T2_PKT1_PKS2_PKS1_S9_21rocsparse_index_base_22rocsparse_matrix_type_20rocsparse_fill_mode_23rocsparse_storage_mode_P22rocsparse_data_status_.uses_vcc, 1
	.set _ZN9rocsparseL23check_matrix_csr_deviceILj256ELj4EfiiEEvT3_S1_T2_PKT1_PKS2_PKS1_S9_21rocsparse_index_base_22rocsparse_matrix_type_20rocsparse_fill_mode_23rocsparse_storage_mode_P22rocsparse_data_status_.uses_flat_scratch, 0
	.set _ZN9rocsparseL23check_matrix_csr_deviceILj256ELj4EfiiEEvT3_S1_T2_PKT1_PKS2_PKS1_S9_21rocsparse_index_base_22rocsparse_matrix_type_20rocsparse_fill_mode_23rocsparse_storage_mode_P22rocsparse_data_status_.has_dyn_sized_stack, 0
	.set _ZN9rocsparseL23check_matrix_csr_deviceILj256ELj4EfiiEEvT3_S1_T2_PKT1_PKS2_PKS1_S9_21rocsparse_index_base_22rocsparse_matrix_type_20rocsparse_fill_mode_23rocsparse_storage_mode_P22rocsparse_data_status_.has_recursion, 0
	.set _ZN9rocsparseL23check_matrix_csr_deviceILj256ELj4EfiiEEvT3_S1_T2_PKT1_PKS2_PKS1_S9_21rocsparse_index_base_22rocsparse_matrix_type_20rocsparse_fill_mode_23rocsparse_storage_mode_P22rocsparse_data_status_.has_indirect_call, 0
	.section	.AMDGPU.csdata,"",@progbits
; Kernel info:
; codeLenInByte = 1000
; TotalNumSgprs: 31
; NumVgprs: 10
; ScratchSize: 0
; MemoryBound: 0
; FloatMode: 240
; IeeeMode: 1
; LDSByteSize: 0 bytes/workgroup (compile time only)
; SGPRBlocks: 0
; VGPRBlocks: 0
; NumSGPRsForWavesPerEU: 31
; NumVGPRsForWavesPerEU: 10
; NamedBarCnt: 0
; Occupancy: 16
; WaveLimiterHint : 0
; COMPUTE_PGM_RSRC2:SCRATCH_EN: 0
; COMPUTE_PGM_RSRC2:USER_SGPR: 2
; COMPUTE_PGM_RSRC2:TRAP_HANDLER: 0
; COMPUTE_PGM_RSRC2:TGID_X_EN: 1
; COMPUTE_PGM_RSRC2:TGID_Y_EN: 0
; COMPUTE_PGM_RSRC2:TGID_Z_EN: 0
; COMPUTE_PGM_RSRC2:TIDIG_COMP_CNT: 0
	.section	.text._ZN9rocsparseL23check_matrix_csr_deviceILj256ELj8EfiiEEvT3_S1_T2_PKT1_PKS2_PKS1_S9_21rocsparse_index_base_22rocsparse_matrix_type_20rocsparse_fill_mode_23rocsparse_storage_mode_P22rocsparse_data_status_,"axG",@progbits,_ZN9rocsparseL23check_matrix_csr_deviceILj256ELj8EfiiEEvT3_S1_T2_PKT1_PKS2_PKS1_S9_21rocsparse_index_base_22rocsparse_matrix_type_20rocsparse_fill_mode_23rocsparse_storage_mode_P22rocsparse_data_status_,comdat
	.globl	_ZN9rocsparseL23check_matrix_csr_deviceILj256ELj8EfiiEEvT3_S1_T2_PKT1_PKS2_PKS1_S9_21rocsparse_index_base_22rocsparse_matrix_type_20rocsparse_fill_mode_23rocsparse_storage_mode_P22rocsparse_data_status_ ; -- Begin function _ZN9rocsparseL23check_matrix_csr_deviceILj256ELj8EfiiEEvT3_S1_T2_PKT1_PKS2_PKS1_S9_21rocsparse_index_base_22rocsparse_matrix_type_20rocsparse_fill_mode_23rocsparse_storage_mode_P22rocsparse_data_status_
	.p2align	8
	.type	_ZN9rocsparseL23check_matrix_csr_deviceILj256ELj8EfiiEEvT3_S1_T2_PKT1_PKS2_PKS1_S9_21rocsparse_index_base_22rocsparse_matrix_type_20rocsparse_fill_mode_23rocsparse_storage_mode_P22rocsparse_data_status_,@function
_ZN9rocsparseL23check_matrix_csr_deviceILj256ELj8EfiiEEvT3_S1_T2_PKT1_PKS2_PKS1_S9_21rocsparse_index_base_22rocsparse_matrix_type_20rocsparse_fill_mode_23rocsparse_storage_mode_P22rocsparse_data_status_: ; @_ZN9rocsparseL23check_matrix_csr_deviceILj256ELj8EfiiEEvT3_S1_T2_PKT1_PKS2_PKS1_S9_21rocsparse_index_base_22rocsparse_matrix_type_20rocsparse_fill_mode_23rocsparse_storage_mode_P22rocsparse_data_status_
; %bb.0:
	s_bfe_u32 s2, ttmp6, 0x4000c
	s_load_b64 s[12:13], s[0:1], 0x0
	s_add_co_i32 s2, s2, 1
	s_and_b32 s3, ttmp6, 15
	s_mul_i32 s2, ttmp9, s2
	s_getreg_b32 s4, hwreg(HW_REG_IB_STS2, 6, 4)
	s_add_co_i32 s3, s3, s2
	s_cmp_eq_u32 s4, 0
	s_cselect_b32 s2, ttmp9, s3
	s_delay_alu instid0(SALU_CYCLE_1) | instskip(SKIP_1) | instid1(VALU_DEP_1)
	v_lshl_or_b32 v1, s2, 8, v0
	s_mov_b32 s2, exec_lo
	v_lshrrev_b32_e32 v2, 3, v1
	s_wait_kmcnt 0x0
	s_delay_alu instid0(VALU_DEP_1)
	v_cmpx_gt_i32_e64 s12, v2
	s_cbranch_execz .LBB3_31
; %bb.1:
	s_load_b64 s[2:3], s[0:1], 0x18
	v_dual_lshlrev_b32 v1, 2, v2 :: v_dual_mov_b32 v5, 3
	s_wait_kmcnt 0x0
	global_load_b64 v[6:7], v1, s[2:3]
	s_wait_xcnt 0x0
	s_load_b32 s2, s[2:3], 0x0
	s_wait_loadcnt 0x0
	s_wait_kmcnt 0x0
	v_subrev_nc_u32_e32 v3, s2, v7
	v_subrev_nc_u32_e32 v4, s2, v6
	v_cmp_lt_i32_e64 s2, v7, v6
	s_delay_alu instid0(VALU_DEP_3) | instskip(NEXT) | instid1(VALU_DEP_3)
	v_cmp_gt_i32_e32 vcc_lo, 0, v3
	v_cmp_lt_i32_e64 s3, -1, v4
	s_or_b32 s2, vcc_lo, s2
	s_delay_alu instid0(SALU_CYCLE_1) | instskip(SKIP_2) | instid1(SALU_CYCLE_1)
	s_xor_b32 s4, s2, -1
	s_mov_b32 s2, -1
	s_and_b32 s3, s3, s4
	s_and_saveexec_b32 s12, s3
	s_cbranch_execz .LBB3_29
; %bb.2:
	v_dual_mov_b32 v5, 3 :: v_dual_bitop2_b32 v0, 7, v0 bitop3:0x40
	s_mov_b32 s2, 0
	s_mov_b32 s16, exec_lo
	s_delay_alu instid0(VALU_DEP_1) | instskip(NEXT) | instid1(VALU_DEP_1)
	v_add_nc_u32_e32 v0, v4, v0
	v_cmpx_lt_u32_e64 v0, v3
	s_cbranch_execz .LBB3_28
; %bb.3:
	s_clause 0x1
	s_load_b256 s[4:11], s[0:1], 0x20
	s_load_b64 s[14:15], s[0:1], 0x10
                                        ; implicit-def: $sgpr18
                                        ; implicit-def: $sgpr19
                                        ; implicit-def: $sgpr20
	s_wait_kmcnt 0x0
	s_cmp_lg_u32 s9, 0
	s_cselect_b32 s9, -1, 0
	s_cmp_lg_u32 s10, 0
	s_cselect_b32 s10, -1, 0
	s_cmp_lg_u32 s11, 0
	s_mov_b32 s11, 0
	s_cselect_b32 s17, -1, 0
	s_branch .LBB3_10
.LBB3_4:                                ;   in Loop: Header=BB3_10 Depth=1
	s_or_b32 exec_lo, exec_lo, s27
	s_delay_alu instid0(SALU_CYCLE_1)
	s_or_not1_b32 s28, s3, exec_lo
	s_or_not1_b32 s2, s25, exec_lo
.LBB3_5:                                ;   in Loop: Header=BB3_10 Depth=1
	s_or_b32 exec_lo, exec_lo, s26
	s_delay_alu instid0(SALU_CYCLE_1)
	s_or_not1_b32 s3, s28, exec_lo
	s_or_not1_b32 s2, s2, exec_lo
.LBB3_6:                                ;   in Loop: Header=BB3_10 Depth=1
	s_or_b32 exec_lo, exec_lo, s24
	s_delay_alu instid0(SALU_CYCLE_1)
	s_or_not1_b32 s3, s3, exec_lo
	s_or_not1_b32 s2, s2, exec_lo
.LBB3_7:                                ;   in Loop: Header=BB3_10 Depth=1
	s_or_b32 exec_lo, exec_lo, s23
	s_delay_alu instid0(SALU_CYCLE_1)
	s_or_not1_b32 s3, s3, exec_lo
	s_or_not1_b32 s2, s2, exec_lo
.LBB3_8:                                ;   in Loop: Header=BB3_10 Depth=1
	s_or_b32 exec_lo, exec_lo, s22
	s_delay_alu instid0(SALU_CYCLE_1)
	s_and_not1_b32 s20, s20, exec_lo
	s_and_b32 s3, s3, exec_lo
	s_and_not1_b32 s19, s19, exec_lo
	s_and_b32 s2, s2, exec_lo
	s_or_b32 s20, s20, s3
	s_or_b32 s19, s19, s2
.LBB3_9:                                ;   in Loop: Header=BB3_10 Depth=1
	s_or_b32 exec_lo, exec_lo, s21
	s_delay_alu instid0(SALU_CYCLE_1) | instskip(NEXT) | instid1(SALU_CYCLE_1)
	s_and_b32 s2, exec_lo, s19
	s_or_b32 s11, s2, s11
	s_and_not1_b32 s2, s18, exec_lo
	s_and_b32 s3, s20, exec_lo
	s_delay_alu instid0(SALU_CYCLE_1)
	s_or_b32 s18, s2, s3
	s_and_not1_b32 exec_lo, exec_lo, s11
	s_cbranch_execz .LBB3_27
.LBB3_10:                               ; =>This Inner Loop Header: Depth=1
	global_load_b32 v6, v0, s[4:5] scale_offset
	v_mov_b32_e32 v5, 4
	s_or_b32 s20, s20, exec_lo
	s_or_b32 s19, s19, exec_lo
	s_wait_loadcnt 0x0
	v_subrev_nc_u32_e32 v7, s8, v6
	s_delay_alu instid0(VALU_DEP_1) | instskip(SKIP_2) | instid1(SALU_CYCLE_1)
	v_cmp_lt_i32_e32 vcc_lo, -1, v7
	v_cmp_gt_i32_e64 s2, s13, v7
	s_and_b32 s2, vcc_lo, s2
	s_and_saveexec_b32 s21, s2
	s_cbranch_execz .LBB3_9
; %bb.11:                               ;   in Loop: Header=BB3_10 Depth=1
	v_cmp_le_i32_e64 s25, v0, v4
	v_dual_ashrrev_i32 v1, 31, v0 :: v_dual_mov_b32 v5, 4
	s_mov_b32 s22, exec_lo
	s_mov_b32 s23, s25
	v_cmpx_gt_i32_e64 v0, v4
	s_cbranch_execz .LBB3_13
; %bb.12:                               ;   in Loop: Header=BB3_10 Depth=1
	v_lshl_add_u64 v[8:9], v[0:1], 2, s[6:7]
	global_load_b64 v[8:9], v[8:9], off offset:-4
	s_wait_loadcnt 0x0
	v_subrev_nc_u32_e32 v5, s8, v8
	v_cmp_ne_u32_e64 s3, v9, v8
	s_delay_alu instid0(VALU_DEP_2) | instskip(SKIP_3) | instid1(SALU_CYCLE_1)
	v_cmp_lt_i32_e32 vcc_lo, -1, v5
	v_cmp_gt_i32_e64 s2, s13, v5
	v_mov_b32_e32 v5, 5
	s_and_b32 s2, vcc_lo, s2
	s_xor_b32 s2, s2, -1
	s_delay_alu instid0(SALU_CYCLE_1) | instskip(SKIP_2) | instid1(SALU_CYCLE_1)
	s_or_b32 s2, s3, s2
	s_and_not1_b32 s3, s25, exec_lo
	s_and_b32 s2, s2, exec_lo
	s_or_b32 s23, s3, s2
.LBB3_13:                               ;   in Loop: Header=BB3_10 Depth=1
	s_or_b32 exec_lo, exec_lo, s22
	s_mov_b32 s2, -1
	s_mov_b32 s3, -1
	s_and_saveexec_b32 s22, s23
	s_cbranch_execz .LBB3_8
; %bb.14:                               ;   in Loop: Header=BB3_10 Depth=1
	v_lshl_add_u64 v[8:9], v[0:1], 2, s[14:15]
	v_mov_b32_e32 v5, 1
	s_mov_b32 s23, exec_lo
	global_load_b32 v8, v[8:9], off
	s_wait_loadcnt 0x0
	v_cmpx_neq_f32_e32 0x7f800000, v8
	s_cbranch_execz .LBB3_7
; %bb.15:                               ;   in Loop: Header=BB3_10 Depth=1
	v_mov_b32_e32 v5, 2
	s_mov_b32 s24, exec_lo
	v_cmpx_o_f32_e32 v8, v8
	s_cbranch_execz .LBB3_6
; %bb.16:                               ;   in Loop: Header=BB3_10 Depth=1
	s_and_b32 vcc_lo, exec_lo, s9
	s_cbranch_vccz .LBB3_19
; %bb.17:                               ;   in Loop: Header=BB3_10 Depth=1
	s_and_b32 vcc_lo, exec_lo, s10
	s_cbranch_vccz .LBB3_20
; %bb.18:                               ;   in Loop: Header=BB3_10 Depth=1
	v_cmp_le_i32_e32 vcc_lo, v2, v7
	s_mov_b32 s3, 7
	s_and_b32 s27, vcc_lo, exec_lo
	s_cbranch_execz .LBB3_21
	s_branch .LBB3_22
.LBB3_19:                               ;   in Loop: Header=BB3_10 Depth=1
	s_mov_b32 s3, 2
	s_mov_b32 s27, -1
	s_branch .LBB3_22
.LBB3_20:                               ;   in Loop: Header=BB3_10 Depth=1
	s_mov_b32 s27, 0
	s_mov_b32 s3, 2
.LBB3_21:                               ;   in Loop: Header=BB3_10 Depth=1
	v_cmp_ge_i32_e32 vcc_lo, v2, v7
	s_and_not1_b32 s26, s27, exec_lo
	s_mov_b32 s3, 7
	s_and_b32 s27, vcc_lo, exec_lo
	s_delay_alu instid0(SALU_CYCLE_1)
	s_or_b32 s27, s26, s27
.LBB3_22:                               ;   in Loop: Header=BB3_10 Depth=1
	v_mov_b32_e32 v5, s3
	s_mov_b32 s28, -1
	s_and_saveexec_b32 s26, s27
	s_cbranch_execz .LBB3_5
; %bb.23:                               ;   in Loop: Header=BB3_10 Depth=1
	v_mov_b32_e32 v5, s3
	s_nor_b32 s3, s17, s25
	s_mov_b32 s25, -1
	s_and_saveexec_b32 s27, s3
	s_cbranch_execz .LBB3_25
; %bb.24:                               ;   in Loop: Header=BB3_10 Depth=1
	v_lshl_add_u64 v[8:9], v[0:1], 2, s[4:5]
	global_load_b32 v1, v[8:9], off offset:-4
	s_wait_loadcnt 0x0
	v_subrev_nc_u32_e32 v5, s8, v1
	v_cmp_gt_i32_e64 s3, v6, v1
	s_delay_alu instid0(VALU_DEP_2) | instskip(SKIP_3) | instid1(SALU_CYCLE_1)
	v_cmp_lt_i32_e32 vcc_lo, -1, v5
	v_cmp_gt_i32_e64 s2, s13, v5
	v_mov_b32_e32 v5, 6
	s_and_b32 s2, vcc_lo, s2
	s_xor_b32 s2, s2, -1
	s_delay_alu instid0(SALU_CYCLE_1) | instskip(NEXT) | instid1(SALU_CYCLE_1)
	s_or_b32 s2, s3, s2
	s_or_not1_b32 s2, s2, exec_lo
.LBB3_25:                               ;   in Loop: Header=BB3_10 Depth=1
	s_or_b32 exec_lo, exec_lo, s27
	s_mov_b32 s3, -1
	s_and_saveexec_b32 s27, s2
	s_cbranch_execz .LBB3_4
; %bb.26:                               ;   in Loop: Header=BB3_10 Depth=1
	v_add_nc_u32_e32 v0, 8, v0
	s_xor_b32 s3, exec_lo, -1
	s_delay_alu instid0(VALU_DEP_1)
	v_cmp_ge_i32_e32 vcc_lo, v0, v3
	s_or_not1_b32 s25, vcc_lo, exec_lo
	s_branch .LBB3_4
.LBB3_27:
	s_or_b32 exec_lo, exec_lo, s11
	s_delay_alu instid0(SALU_CYCLE_1)
	s_and_b32 s2, s18, exec_lo
.LBB3_28:
	s_or_b32 exec_lo, exec_lo, s16
	s_delay_alu instid0(SALU_CYCLE_1)
	s_or_not1_b32 s2, s2, exec_lo
.LBB3_29:
	s_or_b32 exec_lo, exec_lo, s12
	s_delay_alu instid0(SALU_CYCLE_1)
	s_and_b32 exec_lo, exec_lo, s2
	s_cbranch_execz .LBB3_31
; %bb.30:
	s_load_b64 s[0:1], s[0:1], 0x40
	v_mov_b32_e32 v0, 0
	s_wait_kmcnt 0x0
	global_store_b32 v0, v5, s[0:1]
.LBB3_31:
	s_endpgm
	.section	.rodata,"a",@progbits
	.p2align	6, 0x0
	.amdhsa_kernel _ZN9rocsparseL23check_matrix_csr_deviceILj256ELj8EfiiEEvT3_S1_T2_PKT1_PKS2_PKS1_S9_21rocsparse_index_base_22rocsparse_matrix_type_20rocsparse_fill_mode_23rocsparse_storage_mode_P22rocsparse_data_status_
		.amdhsa_group_segment_fixed_size 0
		.amdhsa_private_segment_fixed_size 0
		.amdhsa_kernarg_size 72
		.amdhsa_user_sgpr_count 2
		.amdhsa_user_sgpr_dispatch_ptr 0
		.amdhsa_user_sgpr_queue_ptr 0
		.amdhsa_user_sgpr_kernarg_segment_ptr 1
		.amdhsa_user_sgpr_dispatch_id 0
		.amdhsa_user_sgpr_kernarg_preload_length 0
		.amdhsa_user_sgpr_kernarg_preload_offset 0
		.amdhsa_user_sgpr_private_segment_size 0
		.amdhsa_wavefront_size32 1
		.amdhsa_uses_dynamic_stack 0
		.amdhsa_enable_private_segment 0
		.amdhsa_system_sgpr_workgroup_id_x 1
		.amdhsa_system_sgpr_workgroup_id_y 0
		.amdhsa_system_sgpr_workgroup_id_z 0
		.amdhsa_system_sgpr_workgroup_info 0
		.amdhsa_system_vgpr_workitem_id 0
		.amdhsa_next_free_vgpr 10
		.amdhsa_next_free_sgpr 29
		.amdhsa_named_barrier_count 0
		.amdhsa_reserve_vcc 1
		.amdhsa_float_round_mode_32 0
		.amdhsa_float_round_mode_16_64 0
		.amdhsa_float_denorm_mode_32 3
		.amdhsa_float_denorm_mode_16_64 3
		.amdhsa_fp16_overflow 0
		.amdhsa_memory_ordered 1
		.amdhsa_forward_progress 1
		.amdhsa_inst_pref_size 8
		.amdhsa_round_robin_scheduling 0
		.amdhsa_exception_fp_ieee_invalid_op 0
		.amdhsa_exception_fp_denorm_src 0
		.amdhsa_exception_fp_ieee_div_zero 0
		.amdhsa_exception_fp_ieee_overflow 0
		.amdhsa_exception_fp_ieee_underflow 0
		.amdhsa_exception_fp_ieee_inexact 0
		.amdhsa_exception_int_div_zero 0
	.end_amdhsa_kernel
	.section	.text._ZN9rocsparseL23check_matrix_csr_deviceILj256ELj8EfiiEEvT3_S1_T2_PKT1_PKS2_PKS1_S9_21rocsparse_index_base_22rocsparse_matrix_type_20rocsparse_fill_mode_23rocsparse_storage_mode_P22rocsparse_data_status_,"axG",@progbits,_ZN9rocsparseL23check_matrix_csr_deviceILj256ELj8EfiiEEvT3_S1_T2_PKT1_PKS2_PKS1_S9_21rocsparse_index_base_22rocsparse_matrix_type_20rocsparse_fill_mode_23rocsparse_storage_mode_P22rocsparse_data_status_,comdat
.Lfunc_end3:
	.size	_ZN9rocsparseL23check_matrix_csr_deviceILj256ELj8EfiiEEvT3_S1_T2_PKT1_PKS2_PKS1_S9_21rocsparse_index_base_22rocsparse_matrix_type_20rocsparse_fill_mode_23rocsparse_storage_mode_P22rocsparse_data_status_, .Lfunc_end3-_ZN9rocsparseL23check_matrix_csr_deviceILj256ELj8EfiiEEvT3_S1_T2_PKT1_PKS2_PKS1_S9_21rocsparse_index_base_22rocsparse_matrix_type_20rocsparse_fill_mode_23rocsparse_storage_mode_P22rocsparse_data_status_
                                        ; -- End function
	.set _ZN9rocsparseL23check_matrix_csr_deviceILj256ELj8EfiiEEvT3_S1_T2_PKT1_PKS2_PKS1_S9_21rocsparse_index_base_22rocsparse_matrix_type_20rocsparse_fill_mode_23rocsparse_storage_mode_P22rocsparse_data_status_.num_vgpr, 10
	.set _ZN9rocsparseL23check_matrix_csr_deviceILj256ELj8EfiiEEvT3_S1_T2_PKT1_PKS2_PKS1_S9_21rocsparse_index_base_22rocsparse_matrix_type_20rocsparse_fill_mode_23rocsparse_storage_mode_P22rocsparse_data_status_.num_agpr, 0
	.set _ZN9rocsparseL23check_matrix_csr_deviceILj256ELj8EfiiEEvT3_S1_T2_PKT1_PKS2_PKS1_S9_21rocsparse_index_base_22rocsparse_matrix_type_20rocsparse_fill_mode_23rocsparse_storage_mode_P22rocsparse_data_status_.numbered_sgpr, 29
	.set _ZN9rocsparseL23check_matrix_csr_deviceILj256ELj8EfiiEEvT3_S1_T2_PKT1_PKS2_PKS1_S9_21rocsparse_index_base_22rocsparse_matrix_type_20rocsparse_fill_mode_23rocsparse_storage_mode_P22rocsparse_data_status_.num_named_barrier, 0
	.set _ZN9rocsparseL23check_matrix_csr_deviceILj256ELj8EfiiEEvT3_S1_T2_PKT1_PKS2_PKS1_S9_21rocsparse_index_base_22rocsparse_matrix_type_20rocsparse_fill_mode_23rocsparse_storage_mode_P22rocsparse_data_status_.private_seg_size, 0
	.set _ZN9rocsparseL23check_matrix_csr_deviceILj256ELj8EfiiEEvT3_S1_T2_PKT1_PKS2_PKS1_S9_21rocsparse_index_base_22rocsparse_matrix_type_20rocsparse_fill_mode_23rocsparse_storage_mode_P22rocsparse_data_status_.uses_vcc, 1
	.set _ZN9rocsparseL23check_matrix_csr_deviceILj256ELj8EfiiEEvT3_S1_T2_PKT1_PKS2_PKS1_S9_21rocsparse_index_base_22rocsparse_matrix_type_20rocsparse_fill_mode_23rocsparse_storage_mode_P22rocsparse_data_status_.uses_flat_scratch, 0
	.set _ZN9rocsparseL23check_matrix_csr_deviceILj256ELj8EfiiEEvT3_S1_T2_PKT1_PKS2_PKS1_S9_21rocsparse_index_base_22rocsparse_matrix_type_20rocsparse_fill_mode_23rocsparse_storage_mode_P22rocsparse_data_status_.has_dyn_sized_stack, 0
	.set _ZN9rocsparseL23check_matrix_csr_deviceILj256ELj8EfiiEEvT3_S1_T2_PKT1_PKS2_PKS1_S9_21rocsparse_index_base_22rocsparse_matrix_type_20rocsparse_fill_mode_23rocsparse_storage_mode_P22rocsparse_data_status_.has_recursion, 0
	.set _ZN9rocsparseL23check_matrix_csr_deviceILj256ELj8EfiiEEvT3_S1_T2_PKT1_PKS2_PKS1_S9_21rocsparse_index_base_22rocsparse_matrix_type_20rocsparse_fill_mode_23rocsparse_storage_mode_P22rocsparse_data_status_.has_indirect_call, 0
	.section	.AMDGPU.csdata,"",@progbits
; Kernel info:
; codeLenInByte = 1000
; TotalNumSgprs: 31
; NumVgprs: 10
; ScratchSize: 0
; MemoryBound: 0
; FloatMode: 240
; IeeeMode: 1
; LDSByteSize: 0 bytes/workgroup (compile time only)
; SGPRBlocks: 0
; VGPRBlocks: 0
; NumSGPRsForWavesPerEU: 31
; NumVGPRsForWavesPerEU: 10
; NamedBarCnt: 0
; Occupancy: 16
; WaveLimiterHint : 0
; COMPUTE_PGM_RSRC2:SCRATCH_EN: 0
; COMPUTE_PGM_RSRC2:USER_SGPR: 2
; COMPUTE_PGM_RSRC2:TRAP_HANDLER: 0
; COMPUTE_PGM_RSRC2:TGID_X_EN: 1
; COMPUTE_PGM_RSRC2:TGID_Y_EN: 0
; COMPUTE_PGM_RSRC2:TGID_Z_EN: 0
; COMPUTE_PGM_RSRC2:TIDIG_COMP_CNT: 0
	.section	.text._ZN9rocsparseL23check_matrix_csr_deviceILj256ELj16EfiiEEvT3_S1_T2_PKT1_PKS2_PKS1_S9_21rocsparse_index_base_22rocsparse_matrix_type_20rocsparse_fill_mode_23rocsparse_storage_mode_P22rocsparse_data_status_,"axG",@progbits,_ZN9rocsparseL23check_matrix_csr_deviceILj256ELj16EfiiEEvT3_S1_T2_PKT1_PKS2_PKS1_S9_21rocsparse_index_base_22rocsparse_matrix_type_20rocsparse_fill_mode_23rocsparse_storage_mode_P22rocsparse_data_status_,comdat
	.globl	_ZN9rocsparseL23check_matrix_csr_deviceILj256ELj16EfiiEEvT3_S1_T2_PKT1_PKS2_PKS1_S9_21rocsparse_index_base_22rocsparse_matrix_type_20rocsparse_fill_mode_23rocsparse_storage_mode_P22rocsparse_data_status_ ; -- Begin function _ZN9rocsparseL23check_matrix_csr_deviceILj256ELj16EfiiEEvT3_S1_T2_PKT1_PKS2_PKS1_S9_21rocsparse_index_base_22rocsparse_matrix_type_20rocsparse_fill_mode_23rocsparse_storage_mode_P22rocsparse_data_status_
	.p2align	8
	.type	_ZN9rocsparseL23check_matrix_csr_deviceILj256ELj16EfiiEEvT3_S1_T2_PKT1_PKS2_PKS1_S9_21rocsparse_index_base_22rocsparse_matrix_type_20rocsparse_fill_mode_23rocsparse_storage_mode_P22rocsparse_data_status_,@function
_ZN9rocsparseL23check_matrix_csr_deviceILj256ELj16EfiiEEvT3_S1_T2_PKT1_PKS2_PKS1_S9_21rocsparse_index_base_22rocsparse_matrix_type_20rocsparse_fill_mode_23rocsparse_storage_mode_P22rocsparse_data_status_: ; @_ZN9rocsparseL23check_matrix_csr_deviceILj256ELj16EfiiEEvT3_S1_T2_PKT1_PKS2_PKS1_S9_21rocsparse_index_base_22rocsparse_matrix_type_20rocsparse_fill_mode_23rocsparse_storage_mode_P22rocsparse_data_status_
; %bb.0:
	s_bfe_u32 s2, ttmp6, 0x4000c
	s_load_b64 s[12:13], s[0:1], 0x0
	s_add_co_i32 s2, s2, 1
	s_and_b32 s3, ttmp6, 15
	s_mul_i32 s2, ttmp9, s2
	s_getreg_b32 s4, hwreg(HW_REG_IB_STS2, 6, 4)
	s_add_co_i32 s3, s3, s2
	s_cmp_eq_u32 s4, 0
	s_cselect_b32 s2, ttmp9, s3
	s_delay_alu instid0(SALU_CYCLE_1) | instskip(SKIP_1) | instid1(VALU_DEP_1)
	v_lshl_or_b32 v1, s2, 8, v0
	s_mov_b32 s2, exec_lo
	v_lshrrev_b32_e32 v2, 4, v1
	s_wait_kmcnt 0x0
	s_delay_alu instid0(VALU_DEP_1)
	v_cmpx_gt_i32_e64 s12, v2
	s_cbranch_execz .LBB4_31
; %bb.1:
	s_load_b64 s[2:3], s[0:1], 0x18
	v_dual_lshlrev_b32 v1, 2, v2 :: v_dual_mov_b32 v5, 3
	s_wait_kmcnt 0x0
	global_load_b64 v[6:7], v1, s[2:3]
	s_wait_xcnt 0x0
	s_load_b32 s2, s[2:3], 0x0
	s_wait_loadcnt 0x0
	s_wait_kmcnt 0x0
	v_subrev_nc_u32_e32 v3, s2, v7
	v_subrev_nc_u32_e32 v4, s2, v6
	v_cmp_lt_i32_e64 s2, v7, v6
	s_delay_alu instid0(VALU_DEP_3) | instskip(NEXT) | instid1(VALU_DEP_3)
	v_cmp_gt_i32_e32 vcc_lo, 0, v3
	v_cmp_lt_i32_e64 s3, -1, v4
	s_or_b32 s2, vcc_lo, s2
	s_delay_alu instid0(SALU_CYCLE_1) | instskip(SKIP_2) | instid1(SALU_CYCLE_1)
	s_xor_b32 s4, s2, -1
	s_mov_b32 s2, -1
	s_and_b32 s3, s3, s4
	s_and_saveexec_b32 s12, s3
	s_cbranch_execz .LBB4_29
; %bb.2:
	v_dual_mov_b32 v5, 3 :: v_dual_bitop2_b32 v0, 15, v0 bitop3:0x40
	s_mov_b32 s2, 0
	s_mov_b32 s16, exec_lo
	s_delay_alu instid0(VALU_DEP_1) | instskip(NEXT) | instid1(VALU_DEP_1)
	v_add_nc_u32_e32 v0, v4, v0
	v_cmpx_lt_u32_e64 v0, v3
	s_cbranch_execz .LBB4_28
; %bb.3:
	s_clause 0x1
	s_load_b256 s[4:11], s[0:1], 0x20
	s_load_b64 s[14:15], s[0:1], 0x10
                                        ; implicit-def: $sgpr18
                                        ; implicit-def: $sgpr19
                                        ; implicit-def: $sgpr20
	s_wait_kmcnt 0x0
	s_cmp_lg_u32 s9, 0
	s_cselect_b32 s9, -1, 0
	s_cmp_lg_u32 s10, 0
	s_cselect_b32 s10, -1, 0
	s_cmp_lg_u32 s11, 0
	s_mov_b32 s11, 0
	s_cselect_b32 s17, -1, 0
	s_branch .LBB4_10
.LBB4_4:                                ;   in Loop: Header=BB4_10 Depth=1
	s_or_b32 exec_lo, exec_lo, s27
	s_delay_alu instid0(SALU_CYCLE_1)
	s_or_not1_b32 s28, s3, exec_lo
	s_or_not1_b32 s2, s25, exec_lo
.LBB4_5:                                ;   in Loop: Header=BB4_10 Depth=1
	s_or_b32 exec_lo, exec_lo, s26
	s_delay_alu instid0(SALU_CYCLE_1)
	s_or_not1_b32 s3, s28, exec_lo
	s_or_not1_b32 s2, s2, exec_lo
.LBB4_6:                                ;   in Loop: Header=BB4_10 Depth=1
	s_or_b32 exec_lo, exec_lo, s24
	s_delay_alu instid0(SALU_CYCLE_1)
	s_or_not1_b32 s3, s3, exec_lo
	s_or_not1_b32 s2, s2, exec_lo
.LBB4_7:                                ;   in Loop: Header=BB4_10 Depth=1
	s_or_b32 exec_lo, exec_lo, s23
	s_delay_alu instid0(SALU_CYCLE_1)
	s_or_not1_b32 s3, s3, exec_lo
	s_or_not1_b32 s2, s2, exec_lo
.LBB4_8:                                ;   in Loop: Header=BB4_10 Depth=1
	s_or_b32 exec_lo, exec_lo, s22
	s_delay_alu instid0(SALU_CYCLE_1)
	s_and_not1_b32 s20, s20, exec_lo
	s_and_b32 s3, s3, exec_lo
	s_and_not1_b32 s19, s19, exec_lo
	s_and_b32 s2, s2, exec_lo
	s_or_b32 s20, s20, s3
	s_or_b32 s19, s19, s2
.LBB4_9:                                ;   in Loop: Header=BB4_10 Depth=1
	s_or_b32 exec_lo, exec_lo, s21
	s_delay_alu instid0(SALU_CYCLE_1) | instskip(NEXT) | instid1(SALU_CYCLE_1)
	s_and_b32 s2, exec_lo, s19
	s_or_b32 s11, s2, s11
	s_and_not1_b32 s2, s18, exec_lo
	s_and_b32 s3, s20, exec_lo
	s_delay_alu instid0(SALU_CYCLE_1)
	s_or_b32 s18, s2, s3
	s_and_not1_b32 exec_lo, exec_lo, s11
	s_cbranch_execz .LBB4_27
.LBB4_10:                               ; =>This Inner Loop Header: Depth=1
	global_load_b32 v6, v0, s[4:5] scale_offset
	v_mov_b32_e32 v5, 4
	s_or_b32 s20, s20, exec_lo
	s_or_b32 s19, s19, exec_lo
	s_wait_loadcnt 0x0
	v_subrev_nc_u32_e32 v7, s8, v6
	s_delay_alu instid0(VALU_DEP_1) | instskip(SKIP_2) | instid1(SALU_CYCLE_1)
	v_cmp_lt_i32_e32 vcc_lo, -1, v7
	v_cmp_gt_i32_e64 s2, s13, v7
	s_and_b32 s2, vcc_lo, s2
	s_and_saveexec_b32 s21, s2
	s_cbranch_execz .LBB4_9
; %bb.11:                               ;   in Loop: Header=BB4_10 Depth=1
	v_cmp_le_i32_e64 s25, v0, v4
	v_dual_ashrrev_i32 v1, 31, v0 :: v_dual_mov_b32 v5, 4
	s_mov_b32 s22, exec_lo
	s_mov_b32 s23, s25
	v_cmpx_gt_i32_e64 v0, v4
	s_cbranch_execz .LBB4_13
; %bb.12:                               ;   in Loop: Header=BB4_10 Depth=1
	v_lshl_add_u64 v[8:9], v[0:1], 2, s[6:7]
	global_load_b64 v[8:9], v[8:9], off offset:-4
	s_wait_loadcnt 0x0
	v_subrev_nc_u32_e32 v5, s8, v8
	v_cmp_ne_u32_e64 s3, v9, v8
	s_delay_alu instid0(VALU_DEP_2) | instskip(SKIP_3) | instid1(SALU_CYCLE_1)
	v_cmp_lt_i32_e32 vcc_lo, -1, v5
	v_cmp_gt_i32_e64 s2, s13, v5
	v_mov_b32_e32 v5, 5
	s_and_b32 s2, vcc_lo, s2
	s_xor_b32 s2, s2, -1
	s_delay_alu instid0(SALU_CYCLE_1) | instskip(SKIP_2) | instid1(SALU_CYCLE_1)
	s_or_b32 s2, s3, s2
	s_and_not1_b32 s3, s25, exec_lo
	s_and_b32 s2, s2, exec_lo
	s_or_b32 s23, s3, s2
.LBB4_13:                               ;   in Loop: Header=BB4_10 Depth=1
	s_or_b32 exec_lo, exec_lo, s22
	s_mov_b32 s2, -1
	s_mov_b32 s3, -1
	s_and_saveexec_b32 s22, s23
	s_cbranch_execz .LBB4_8
; %bb.14:                               ;   in Loop: Header=BB4_10 Depth=1
	v_lshl_add_u64 v[8:9], v[0:1], 2, s[14:15]
	v_mov_b32_e32 v5, 1
	s_mov_b32 s23, exec_lo
	global_load_b32 v8, v[8:9], off
	s_wait_loadcnt 0x0
	v_cmpx_neq_f32_e32 0x7f800000, v8
	s_cbranch_execz .LBB4_7
; %bb.15:                               ;   in Loop: Header=BB4_10 Depth=1
	v_mov_b32_e32 v5, 2
	s_mov_b32 s24, exec_lo
	v_cmpx_o_f32_e32 v8, v8
	s_cbranch_execz .LBB4_6
; %bb.16:                               ;   in Loop: Header=BB4_10 Depth=1
	s_and_b32 vcc_lo, exec_lo, s9
	s_cbranch_vccz .LBB4_19
; %bb.17:                               ;   in Loop: Header=BB4_10 Depth=1
	s_and_b32 vcc_lo, exec_lo, s10
	s_cbranch_vccz .LBB4_20
; %bb.18:                               ;   in Loop: Header=BB4_10 Depth=1
	v_cmp_le_i32_e32 vcc_lo, v2, v7
	s_mov_b32 s3, 7
	s_and_b32 s27, vcc_lo, exec_lo
	s_cbranch_execz .LBB4_21
	s_branch .LBB4_22
.LBB4_19:                               ;   in Loop: Header=BB4_10 Depth=1
	s_mov_b32 s3, 2
	s_mov_b32 s27, -1
	s_branch .LBB4_22
.LBB4_20:                               ;   in Loop: Header=BB4_10 Depth=1
	s_mov_b32 s27, 0
	s_mov_b32 s3, 2
.LBB4_21:                               ;   in Loop: Header=BB4_10 Depth=1
	v_cmp_ge_i32_e32 vcc_lo, v2, v7
	s_and_not1_b32 s26, s27, exec_lo
	s_mov_b32 s3, 7
	s_and_b32 s27, vcc_lo, exec_lo
	s_delay_alu instid0(SALU_CYCLE_1)
	s_or_b32 s27, s26, s27
.LBB4_22:                               ;   in Loop: Header=BB4_10 Depth=1
	v_mov_b32_e32 v5, s3
	s_mov_b32 s28, -1
	s_and_saveexec_b32 s26, s27
	s_cbranch_execz .LBB4_5
; %bb.23:                               ;   in Loop: Header=BB4_10 Depth=1
	v_mov_b32_e32 v5, s3
	s_nor_b32 s3, s17, s25
	s_mov_b32 s25, -1
	s_and_saveexec_b32 s27, s3
	s_cbranch_execz .LBB4_25
; %bb.24:                               ;   in Loop: Header=BB4_10 Depth=1
	v_lshl_add_u64 v[8:9], v[0:1], 2, s[4:5]
	global_load_b32 v1, v[8:9], off offset:-4
	s_wait_loadcnt 0x0
	v_subrev_nc_u32_e32 v5, s8, v1
	v_cmp_gt_i32_e64 s3, v6, v1
	s_delay_alu instid0(VALU_DEP_2) | instskip(SKIP_3) | instid1(SALU_CYCLE_1)
	v_cmp_lt_i32_e32 vcc_lo, -1, v5
	v_cmp_gt_i32_e64 s2, s13, v5
	v_mov_b32_e32 v5, 6
	s_and_b32 s2, vcc_lo, s2
	s_xor_b32 s2, s2, -1
	s_delay_alu instid0(SALU_CYCLE_1) | instskip(NEXT) | instid1(SALU_CYCLE_1)
	s_or_b32 s2, s3, s2
	s_or_not1_b32 s2, s2, exec_lo
.LBB4_25:                               ;   in Loop: Header=BB4_10 Depth=1
	s_or_b32 exec_lo, exec_lo, s27
	s_mov_b32 s3, -1
	s_and_saveexec_b32 s27, s2
	s_cbranch_execz .LBB4_4
; %bb.26:                               ;   in Loop: Header=BB4_10 Depth=1
	v_add_nc_u32_e32 v0, 16, v0
	s_xor_b32 s3, exec_lo, -1
	s_delay_alu instid0(VALU_DEP_1)
	v_cmp_ge_i32_e32 vcc_lo, v0, v3
	s_or_not1_b32 s25, vcc_lo, exec_lo
	s_branch .LBB4_4
.LBB4_27:
	s_or_b32 exec_lo, exec_lo, s11
	s_delay_alu instid0(SALU_CYCLE_1)
	s_and_b32 s2, s18, exec_lo
.LBB4_28:
	s_or_b32 exec_lo, exec_lo, s16
	s_delay_alu instid0(SALU_CYCLE_1)
	s_or_not1_b32 s2, s2, exec_lo
.LBB4_29:
	s_or_b32 exec_lo, exec_lo, s12
	s_delay_alu instid0(SALU_CYCLE_1)
	s_and_b32 exec_lo, exec_lo, s2
	s_cbranch_execz .LBB4_31
; %bb.30:
	s_load_b64 s[0:1], s[0:1], 0x40
	v_mov_b32_e32 v0, 0
	s_wait_kmcnt 0x0
	global_store_b32 v0, v5, s[0:1]
.LBB4_31:
	s_endpgm
	.section	.rodata,"a",@progbits
	.p2align	6, 0x0
	.amdhsa_kernel _ZN9rocsparseL23check_matrix_csr_deviceILj256ELj16EfiiEEvT3_S1_T2_PKT1_PKS2_PKS1_S9_21rocsparse_index_base_22rocsparse_matrix_type_20rocsparse_fill_mode_23rocsparse_storage_mode_P22rocsparse_data_status_
		.amdhsa_group_segment_fixed_size 0
		.amdhsa_private_segment_fixed_size 0
		.amdhsa_kernarg_size 72
		.amdhsa_user_sgpr_count 2
		.amdhsa_user_sgpr_dispatch_ptr 0
		.amdhsa_user_sgpr_queue_ptr 0
		.amdhsa_user_sgpr_kernarg_segment_ptr 1
		.amdhsa_user_sgpr_dispatch_id 0
		.amdhsa_user_sgpr_kernarg_preload_length 0
		.amdhsa_user_sgpr_kernarg_preload_offset 0
		.amdhsa_user_sgpr_private_segment_size 0
		.amdhsa_wavefront_size32 1
		.amdhsa_uses_dynamic_stack 0
		.amdhsa_enable_private_segment 0
		.amdhsa_system_sgpr_workgroup_id_x 1
		.amdhsa_system_sgpr_workgroup_id_y 0
		.amdhsa_system_sgpr_workgroup_id_z 0
		.amdhsa_system_sgpr_workgroup_info 0
		.amdhsa_system_vgpr_workitem_id 0
		.amdhsa_next_free_vgpr 10
		.amdhsa_next_free_sgpr 29
		.amdhsa_named_barrier_count 0
		.amdhsa_reserve_vcc 1
		.amdhsa_float_round_mode_32 0
		.amdhsa_float_round_mode_16_64 0
		.amdhsa_float_denorm_mode_32 3
		.amdhsa_float_denorm_mode_16_64 3
		.amdhsa_fp16_overflow 0
		.amdhsa_memory_ordered 1
		.amdhsa_forward_progress 1
		.amdhsa_inst_pref_size 8
		.amdhsa_round_robin_scheduling 0
		.amdhsa_exception_fp_ieee_invalid_op 0
		.amdhsa_exception_fp_denorm_src 0
		.amdhsa_exception_fp_ieee_div_zero 0
		.amdhsa_exception_fp_ieee_overflow 0
		.amdhsa_exception_fp_ieee_underflow 0
		.amdhsa_exception_fp_ieee_inexact 0
		.amdhsa_exception_int_div_zero 0
	.end_amdhsa_kernel
	.section	.text._ZN9rocsparseL23check_matrix_csr_deviceILj256ELj16EfiiEEvT3_S1_T2_PKT1_PKS2_PKS1_S9_21rocsparse_index_base_22rocsparse_matrix_type_20rocsparse_fill_mode_23rocsparse_storage_mode_P22rocsparse_data_status_,"axG",@progbits,_ZN9rocsparseL23check_matrix_csr_deviceILj256ELj16EfiiEEvT3_S1_T2_PKT1_PKS2_PKS1_S9_21rocsparse_index_base_22rocsparse_matrix_type_20rocsparse_fill_mode_23rocsparse_storage_mode_P22rocsparse_data_status_,comdat
.Lfunc_end4:
	.size	_ZN9rocsparseL23check_matrix_csr_deviceILj256ELj16EfiiEEvT3_S1_T2_PKT1_PKS2_PKS1_S9_21rocsparse_index_base_22rocsparse_matrix_type_20rocsparse_fill_mode_23rocsparse_storage_mode_P22rocsparse_data_status_, .Lfunc_end4-_ZN9rocsparseL23check_matrix_csr_deviceILj256ELj16EfiiEEvT3_S1_T2_PKT1_PKS2_PKS1_S9_21rocsparse_index_base_22rocsparse_matrix_type_20rocsparse_fill_mode_23rocsparse_storage_mode_P22rocsparse_data_status_
                                        ; -- End function
	.set _ZN9rocsparseL23check_matrix_csr_deviceILj256ELj16EfiiEEvT3_S1_T2_PKT1_PKS2_PKS1_S9_21rocsparse_index_base_22rocsparse_matrix_type_20rocsparse_fill_mode_23rocsparse_storage_mode_P22rocsparse_data_status_.num_vgpr, 10
	.set _ZN9rocsparseL23check_matrix_csr_deviceILj256ELj16EfiiEEvT3_S1_T2_PKT1_PKS2_PKS1_S9_21rocsparse_index_base_22rocsparse_matrix_type_20rocsparse_fill_mode_23rocsparse_storage_mode_P22rocsparse_data_status_.num_agpr, 0
	.set _ZN9rocsparseL23check_matrix_csr_deviceILj256ELj16EfiiEEvT3_S1_T2_PKT1_PKS2_PKS1_S9_21rocsparse_index_base_22rocsparse_matrix_type_20rocsparse_fill_mode_23rocsparse_storage_mode_P22rocsparse_data_status_.numbered_sgpr, 29
	.set _ZN9rocsparseL23check_matrix_csr_deviceILj256ELj16EfiiEEvT3_S1_T2_PKT1_PKS2_PKS1_S9_21rocsparse_index_base_22rocsparse_matrix_type_20rocsparse_fill_mode_23rocsparse_storage_mode_P22rocsparse_data_status_.num_named_barrier, 0
	.set _ZN9rocsparseL23check_matrix_csr_deviceILj256ELj16EfiiEEvT3_S1_T2_PKT1_PKS2_PKS1_S9_21rocsparse_index_base_22rocsparse_matrix_type_20rocsparse_fill_mode_23rocsparse_storage_mode_P22rocsparse_data_status_.private_seg_size, 0
	.set _ZN9rocsparseL23check_matrix_csr_deviceILj256ELj16EfiiEEvT3_S1_T2_PKT1_PKS2_PKS1_S9_21rocsparse_index_base_22rocsparse_matrix_type_20rocsparse_fill_mode_23rocsparse_storage_mode_P22rocsparse_data_status_.uses_vcc, 1
	.set _ZN9rocsparseL23check_matrix_csr_deviceILj256ELj16EfiiEEvT3_S1_T2_PKT1_PKS2_PKS1_S9_21rocsparse_index_base_22rocsparse_matrix_type_20rocsparse_fill_mode_23rocsparse_storage_mode_P22rocsparse_data_status_.uses_flat_scratch, 0
	.set _ZN9rocsparseL23check_matrix_csr_deviceILj256ELj16EfiiEEvT3_S1_T2_PKT1_PKS2_PKS1_S9_21rocsparse_index_base_22rocsparse_matrix_type_20rocsparse_fill_mode_23rocsparse_storage_mode_P22rocsparse_data_status_.has_dyn_sized_stack, 0
	.set _ZN9rocsparseL23check_matrix_csr_deviceILj256ELj16EfiiEEvT3_S1_T2_PKT1_PKS2_PKS1_S9_21rocsparse_index_base_22rocsparse_matrix_type_20rocsparse_fill_mode_23rocsparse_storage_mode_P22rocsparse_data_status_.has_recursion, 0
	.set _ZN9rocsparseL23check_matrix_csr_deviceILj256ELj16EfiiEEvT3_S1_T2_PKT1_PKS2_PKS1_S9_21rocsparse_index_base_22rocsparse_matrix_type_20rocsparse_fill_mode_23rocsparse_storage_mode_P22rocsparse_data_status_.has_indirect_call, 0
	.section	.AMDGPU.csdata,"",@progbits
; Kernel info:
; codeLenInByte = 1000
; TotalNumSgprs: 31
; NumVgprs: 10
; ScratchSize: 0
; MemoryBound: 0
; FloatMode: 240
; IeeeMode: 1
; LDSByteSize: 0 bytes/workgroup (compile time only)
; SGPRBlocks: 0
; VGPRBlocks: 0
; NumSGPRsForWavesPerEU: 31
; NumVGPRsForWavesPerEU: 10
; NamedBarCnt: 0
; Occupancy: 16
; WaveLimiterHint : 0
; COMPUTE_PGM_RSRC2:SCRATCH_EN: 0
; COMPUTE_PGM_RSRC2:USER_SGPR: 2
; COMPUTE_PGM_RSRC2:TRAP_HANDLER: 0
; COMPUTE_PGM_RSRC2:TGID_X_EN: 1
; COMPUTE_PGM_RSRC2:TGID_Y_EN: 0
; COMPUTE_PGM_RSRC2:TGID_Z_EN: 0
; COMPUTE_PGM_RSRC2:TIDIG_COMP_CNT: 0
	.section	.text._ZN9rocsparseL23check_matrix_csr_deviceILj256ELj32EfiiEEvT3_S1_T2_PKT1_PKS2_PKS1_S9_21rocsparse_index_base_22rocsparse_matrix_type_20rocsparse_fill_mode_23rocsparse_storage_mode_P22rocsparse_data_status_,"axG",@progbits,_ZN9rocsparseL23check_matrix_csr_deviceILj256ELj32EfiiEEvT3_S1_T2_PKT1_PKS2_PKS1_S9_21rocsparse_index_base_22rocsparse_matrix_type_20rocsparse_fill_mode_23rocsparse_storage_mode_P22rocsparse_data_status_,comdat
	.globl	_ZN9rocsparseL23check_matrix_csr_deviceILj256ELj32EfiiEEvT3_S1_T2_PKT1_PKS2_PKS1_S9_21rocsparse_index_base_22rocsparse_matrix_type_20rocsparse_fill_mode_23rocsparse_storage_mode_P22rocsparse_data_status_ ; -- Begin function _ZN9rocsparseL23check_matrix_csr_deviceILj256ELj32EfiiEEvT3_S1_T2_PKT1_PKS2_PKS1_S9_21rocsparse_index_base_22rocsparse_matrix_type_20rocsparse_fill_mode_23rocsparse_storage_mode_P22rocsparse_data_status_
	.p2align	8
	.type	_ZN9rocsparseL23check_matrix_csr_deviceILj256ELj32EfiiEEvT3_S1_T2_PKT1_PKS2_PKS1_S9_21rocsparse_index_base_22rocsparse_matrix_type_20rocsparse_fill_mode_23rocsparse_storage_mode_P22rocsparse_data_status_,@function
_ZN9rocsparseL23check_matrix_csr_deviceILj256ELj32EfiiEEvT3_S1_T2_PKT1_PKS2_PKS1_S9_21rocsparse_index_base_22rocsparse_matrix_type_20rocsparse_fill_mode_23rocsparse_storage_mode_P22rocsparse_data_status_: ; @_ZN9rocsparseL23check_matrix_csr_deviceILj256ELj32EfiiEEvT3_S1_T2_PKT1_PKS2_PKS1_S9_21rocsparse_index_base_22rocsparse_matrix_type_20rocsparse_fill_mode_23rocsparse_storage_mode_P22rocsparse_data_status_
; %bb.0:
	s_bfe_u32 s2, ttmp6, 0x4000c
	s_load_b64 s[12:13], s[0:1], 0x0
	s_add_co_i32 s2, s2, 1
	s_and_b32 s3, ttmp6, 15
	s_mul_i32 s2, ttmp9, s2
	s_getreg_b32 s4, hwreg(HW_REG_IB_STS2, 6, 4)
	s_add_co_i32 s3, s3, s2
	s_cmp_eq_u32 s4, 0
	s_cselect_b32 s2, ttmp9, s3
	s_delay_alu instid0(SALU_CYCLE_1) | instskip(SKIP_1) | instid1(VALU_DEP_1)
	v_lshl_or_b32 v1, s2, 8, v0
	s_mov_b32 s2, exec_lo
	v_lshrrev_b32_e32 v2, 5, v1
	s_wait_kmcnt 0x0
	s_delay_alu instid0(VALU_DEP_1)
	v_cmpx_gt_i32_e64 s12, v2
	s_cbranch_execz .LBB5_31
; %bb.1:
	s_load_b64 s[2:3], s[0:1], 0x18
	v_dual_lshlrev_b32 v1, 2, v2 :: v_dual_mov_b32 v5, 3
	s_wait_kmcnt 0x0
	global_load_b64 v[6:7], v1, s[2:3]
	s_wait_xcnt 0x0
	s_load_b32 s2, s[2:3], 0x0
	s_wait_loadcnt 0x0
	s_wait_kmcnt 0x0
	v_subrev_nc_u32_e32 v3, s2, v7
	v_subrev_nc_u32_e32 v4, s2, v6
	v_cmp_lt_i32_e64 s2, v7, v6
	s_delay_alu instid0(VALU_DEP_3) | instskip(NEXT) | instid1(VALU_DEP_3)
	v_cmp_gt_i32_e32 vcc_lo, 0, v3
	v_cmp_lt_i32_e64 s3, -1, v4
	s_or_b32 s2, vcc_lo, s2
	s_delay_alu instid0(SALU_CYCLE_1) | instskip(SKIP_2) | instid1(SALU_CYCLE_1)
	s_xor_b32 s4, s2, -1
	s_mov_b32 s2, -1
	s_and_b32 s3, s3, s4
	s_and_saveexec_b32 s12, s3
	s_cbranch_execz .LBB5_29
; %bb.2:
	v_dual_mov_b32 v5, 3 :: v_dual_bitop2_b32 v0, 31, v0 bitop3:0x40
	s_mov_b32 s2, 0
	s_mov_b32 s16, exec_lo
	s_delay_alu instid0(VALU_DEP_1) | instskip(NEXT) | instid1(VALU_DEP_1)
	v_add_nc_u32_e32 v0, v4, v0
	v_cmpx_lt_u32_e64 v0, v3
	s_cbranch_execz .LBB5_28
; %bb.3:
	s_clause 0x1
	s_load_b256 s[4:11], s[0:1], 0x20
	s_load_b64 s[14:15], s[0:1], 0x10
                                        ; implicit-def: $sgpr18
                                        ; implicit-def: $sgpr19
                                        ; implicit-def: $sgpr20
	s_wait_kmcnt 0x0
	s_cmp_lg_u32 s9, 0
	s_cselect_b32 s9, -1, 0
	s_cmp_lg_u32 s10, 0
	s_cselect_b32 s10, -1, 0
	s_cmp_lg_u32 s11, 0
	s_mov_b32 s11, 0
	s_cselect_b32 s17, -1, 0
	s_branch .LBB5_10
.LBB5_4:                                ;   in Loop: Header=BB5_10 Depth=1
	s_or_b32 exec_lo, exec_lo, s27
	s_delay_alu instid0(SALU_CYCLE_1)
	s_or_not1_b32 s28, s3, exec_lo
	s_or_not1_b32 s2, s25, exec_lo
.LBB5_5:                                ;   in Loop: Header=BB5_10 Depth=1
	s_or_b32 exec_lo, exec_lo, s26
	s_delay_alu instid0(SALU_CYCLE_1)
	s_or_not1_b32 s3, s28, exec_lo
	s_or_not1_b32 s2, s2, exec_lo
.LBB5_6:                                ;   in Loop: Header=BB5_10 Depth=1
	s_or_b32 exec_lo, exec_lo, s24
	s_delay_alu instid0(SALU_CYCLE_1)
	s_or_not1_b32 s3, s3, exec_lo
	s_or_not1_b32 s2, s2, exec_lo
.LBB5_7:                                ;   in Loop: Header=BB5_10 Depth=1
	s_or_b32 exec_lo, exec_lo, s23
	s_delay_alu instid0(SALU_CYCLE_1)
	s_or_not1_b32 s3, s3, exec_lo
	s_or_not1_b32 s2, s2, exec_lo
.LBB5_8:                                ;   in Loop: Header=BB5_10 Depth=1
	s_or_b32 exec_lo, exec_lo, s22
	s_delay_alu instid0(SALU_CYCLE_1)
	s_and_not1_b32 s20, s20, exec_lo
	s_and_b32 s3, s3, exec_lo
	s_and_not1_b32 s19, s19, exec_lo
	s_and_b32 s2, s2, exec_lo
	s_or_b32 s20, s20, s3
	s_or_b32 s19, s19, s2
.LBB5_9:                                ;   in Loop: Header=BB5_10 Depth=1
	s_or_b32 exec_lo, exec_lo, s21
	s_delay_alu instid0(SALU_CYCLE_1) | instskip(NEXT) | instid1(SALU_CYCLE_1)
	s_and_b32 s2, exec_lo, s19
	s_or_b32 s11, s2, s11
	s_and_not1_b32 s2, s18, exec_lo
	s_and_b32 s3, s20, exec_lo
	s_delay_alu instid0(SALU_CYCLE_1)
	s_or_b32 s18, s2, s3
	s_and_not1_b32 exec_lo, exec_lo, s11
	s_cbranch_execz .LBB5_27
.LBB5_10:                               ; =>This Inner Loop Header: Depth=1
	global_load_b32 v6, v0, s[4:5] scale_offset
	v_mov_b32_e32 v5, 4
	s_or_b32 s20, s20, exec_lo
	s_or_b32 s19, s19, exec_lo
	s_wait_loadcnt 0x0
	v_subrev_nc_u32_e32 v7, s8, v6
	s_delay_alu instid0(VALU_DEP_1) | instskip(SKIP_2) | instid1(SALU_CYCLE_1)
	v_cmp_lt_i32_e32 vcc_lo, -1, v7
	v_cmp_gt_i32_e64 s2, s13, v7
	s_and_b32 s2, vcc_lo, s2
	s_and_saveexec_b32 s21, s2
	s_cbranch_execz .LBB5_9
; %bb.11:                               ;   in Loop: Header=BB5_10 Depth=1
	v_cmp_le_i32_e64 s25, v0, v4
	v_dual_ashrrev_i32 v1, 31, v0 :: v_dual_mov_b32 v5, 4
	s_mov_b32 s22, exec_lo
	s_mov_b32 s23, s25
	v_cmpx_gt_i32_e64 v0, v4
	s_cbranch_execz .LBB5_13
; %bb.12:                               ;   in Loop: Header=BB5_10 Depth=1
	v_lshl_add_u64 v[8:9], v[0:1], 2, s[6:7]
	global_load_b64 v[8:9], v[8:9], off offset:-4
	s_wait_loadcnt 0x0
	v_subrev_nc_u32_e32 v5, s8, v8
	v_cmp_ne_u32_e64 s3, v9, v8
	s_delay_alu instid0(VALU_DEP_2) | instskip(SKIP_3) | instid1(SALU_CYCLE_1)
	v_cmp_lt_i32_e32 vcc_lo, -1, v5
	v_cmp_gt_i32_e64 s2, s13, v5
	v_mov_b32_e32 v5, 5
	s_and_b32 s2, vcc_lo, s2
	s_xor_b32 s2, s2, -1
	s_delay_alu instid0(SALU_CYCLE_1) | instskip(SKIP_2) | instid1(SALU_CYCLE_1)
	s_or_b32 s2, s3, s2
	s_and_not1_b32 s3, s25, exec_lo
	s_and_b32 s2, s2, exec_lo
	s_or_b32 s23, s3, s2
.LBB5_13:                               ;   in Loop: Header=BB5_10 Depth=1
	s_or_b32 exec_lo, exec_lo, s22
	s_mov_b32 s2, -1
	s_mov_b32 s3, -1
	s_and_saveexec_b32 s22, s23
	s_cbranch_execz .LBB5_8
; %bb.14:                               ;   in Loop: Header=BB5_10 Depth=1
	v_lshl_add_u64 v[8:9], v[0:1], 2, s[14:15]
	v_mov_b32_e32 v5, 1
	s_mov_b32 s23, exec_lo
	global_load_b32 v8, v[8:9], off
	s_wait_loadcnt 0x0
	v_cmpx_neq_f32_e32 0x7f800000, v8
	s_cbranch_execz .LBB5_7
; %bb.15:                               ;   in Loop: Header=BB5_10 Depth=1
	v_mov_b32_e32 v5, 2
	s_mov_b32 s24, exec_lo
	v_cmpx_o_f32_e32 v8, v8
	s_cbranch_execz .LBB5_6
; %bb.16:                               ;   in Loop: Header=BB5_10 Depth=1
	s_and_b32 vcc_lo, exec_lo, s9
	s_cbranch_vccz .LBB5_19
; %bb.17:                               ;   in Loop: Header=BB5_10 Depth=1
	s_and_b32 vcc_lo, exec_lo, s10
	s_cbranch_vccz .LBB5_20
; %bb.18:                               ;   in Loop: Header=BB5_10 Depth=1
	v_cmp_le_i32_e32 vcc_lo, v2, v7
	s_mov_b32 s3, 7
	s_and_b32 s27, vcc_lo, exec_lo
	s_cbranch_execz .LBB5_21
	s_branch .LBB5_22
.LBB5_19:                               ;   in Loop: Header=BB5_10 Depth=1
	s_mov_b32 s3, 2
	s_mov_b32 s27, -1
	s_branch .LBB5_22
.LBB5_20:                               ;   in Loop: Header=BB5_10 Depth=1
	s_mov_b32 s27, 0
	s_mov_b32 s3, 2
.LBB5_21:                               ;   in Loop: Header=BB5_10 Depth=1
	v_cmp_ge_i32_e32 vcc_lo, v2, v7
	s_and_not1_b32 s26, s27, exec_lo
	s_mov_b32 s3, 7
	s_and_b32 s27, vcc_lo, exec_lo
	s_delay_alu instid0(SALU_CYCLE_1)
	s_or_b32 s27, s26, s27
.LBB5_22:                               ;   in Loop: Header=BB5_10 Depth=1
	v_mov_b32_e32 v5, s3
	s_mov_b32 s28, -1
	s_and_saveexec_b32 s26, s27
	s_cbranch_execz .LBB5_5
; %bb.23:                               ;   in Loop: Header=BB5_10 Depth=1
	v_mov_b32_e32 v5, s3
	s_nor_b32 s3, s17, s25
	s_mov_b32 s25, -1
	s_and_saveexec_b32 s27, s3
	s_cbranch_execz .LBB5_25
; %bb.24:                               ;   in Loop: Header=BB5_10 Depth=1
	v_lshl_add_u64 v[8:9], v[0:1], 2, s[4:5]
	global_load_b32 v1, v[8:9], off offset:-4
	s_wait_loadcnt 0x0
	v_subrev_nc_u32_e32 v5, s8, v1
	v_cmp_gt_i32_e64 s3, v6, v1
	s_delay_alu instid0(VALU_DEP_2) | instskip(SKIP_3) | instid1(SALU_CYCLE_1)
	v_cmp_lt_i32_e32 vcc_lo, -1, v5
	v_cmp_gt_i32_e64 s2, s13, v5
	v_mov_b32_e32 v5, 6
	s_and_b32 s2, vcc_lo, s2
	s_xor_b32 s2, s2, -1
	s_delay_alu instid0(SALU_CYCLE_1) | instskip(NEXT) | instid1(SALU_CYCLE_1)
	s_or_b32 s2, s3, s2
	s_or_not1_b32 s2, s2, exec_lo
.LBB5_25:                               ;   in Loop: Header=BB5_10 Depth=1
	s_or_b32 exec_lo, exec_lo, s27
	s_mov_b32 s3, -1
	s_and_saveexec_b32 s27, s2
	s_cbranch_execz .LBB5_4
; %bb.26:                               ;   in Loop: Header=BB5_10 Depth=1
	v_add_nc_u32_e32 v0, 32, v0
	s_xor_b32 s3, exec_lo, -1
	s_delay_alu instid0(VALU_DEP_1)
	v_cmp_ge_i32_e32 vcc_lo, v0, v3
	s_or_not1_b32 s25, vcc_lo, exec_lo
	s_branch .LBB5_4
.LBB5_27:
	s_or_b32 exec_lo, exec_lo, s11
	s_delay_alu instid0(SALU_CYCLE_1)
	s_and_b32 s2, s18, exec_lo
.LBB5_28:
	s_or_b32 exec_lo, exec_lo, s16
	s_delay_alu instid0(SALU_CYCLE_1)
	s_or_not1_b32 s2, s2, exec_lo
.LBB5_29:
	s_or_b32 exec_lo, exec_lo, s12
	s_delay_alu instid0(SALU_CYCLE_1)
	s_and_b32 exec_lo, exec_lo, s2
	s_cbranch_execz .LBB5_31
; %bb.30:
	s_load_b64 s[0:1], s[0:1], 0x40
	v_mov_b32_e32 v0, 0
	s_wait_kmcnt 0x0
	global_store_b32 v0, v5, s[0:1]
.LBB5_31:
	s_endpgm
	.section	.rodata,"a",@progbits
	.p2align	6, 0x0
	.amdhsa_kernel _ZN9rocsparseL23check_matrix_csr_deviceILj256ELj32EfiiEEvT3_S1_T2_PKT1_PKS2_PKS1_S9_21rocsparse_index_base_22rocsparse_matrix_type_20rocsparse_fill_mode_23rocsparse_storage_mode_P22rocsparse_data_status_
		.amdhsa_group_segment_fixed_size 0
		.amdhsa_private_segment_fixed_size 0
		.amdhsa_kernarg_size 72
		.amdhsa_user_sgpr_count 2
		.amdhsa_user_sgpr_dispatch_ptr 0
		.amdhsa_user_sgpr_queue_ptr 0
		.amdhsa_user_sgpr_kernarg_segment_ptr 1
		.amdhsa_user_sgpr_dispatch_id 0
		.amdhsa_user_sgpr_kernarg_preload_length 0
		.amdhsa_user_sgpr_kernarg_preload_offset 0
		.amdhsa_user_sgpr_private_segment_size 0
		.amdhsa_wavefront_size32 1
		.amdhsa_uses_dynamic_stack 0
		.amdhsa_enable_private_segment 0
		.amdhsa_system_sgpr_workgroup_id_x 1
		.amdhsa_system_sgpr_workgroup_id_y 0
		.amdhsa_system_sgpr_workgroup_id_z 0
		.amdhsa_system_sgpr_workgroup_info 0
		.amdhsa_system_vgpr_workitem_id 0
		.amdhsa_next_free_vgpr 10
		.amdhsa_next_free_sgpr 29
		.amdhsa_named_barrier_count 0
		.amdhsa_reserve_vcc 1
		.amdhsa_float_round_mode_32 0
		.amdhsa_float_round_mode_16_64 0
		.amdhsa_float_denorm_mode_32 3
		.amdhsa_float_denorm_mode_16_64 3
		.amdhsa_fp16_overflow 0
		.amdhsa_memory_ordered 1
		.amdhsa_forward_progress 1
		.amdhsa_inst_pref_size 8
		.amdhsa_round_robin_scheduling 0
		.amdhsa_exception_fp_ieee_invalid_op 0
		.amdhsa_exception_fp_denorm_src 0
		.amdhsa_exception_fp_ieee_div_zero 0
		.amdhsa_exception_fp_ieee_overflow 0
		.amdhsa_exception_fp_ieee_underflow 0
		.amdhsa_exception_fp_ieee_inexact 0
		.amdhsa_exception_int_div_zero 0
	.end_amdhsa_kernel
	.section	.text._ZN9rocsparseL23check_matrix_csr_deviceILj256ELj32EfiiEEvT3_S1_T2_PKT1_PKS2_PKS1_S9_21rocsparse_index_base_22rocsparse_matrix_type_20rocsparse_fill_mode_23rocsparse_storage_mode_P22rocsparse_data_status_,"axG",@progbits,_ZN9rocsparseL23check_matrix_csr_deviceILj256ELj32EfiiEEvT3_S1_T2_PKT1_PKS2_PKS1_S9_21rocsparse_index_base_22rocsparse_matrix_type_20rocsparse_fill_mode_23rocsparse_storage_mode_P22rocsparse_data_status_,comdat
.Lfunc_end5:
	.size	_ZN9rocsparseL23check_matrix_csr_deviceILj256ELj32EfiiEEvT3_S1_T2_PKT1_PKS2_PKS1_S9_21rocsparse_index_base_22rocsparse_matrix_type_20rocsparse_fill_mode_23rocsparse_storage_mode_P22rocsparse_data_status_, .Lfunc_end5-_ZN9rocsparseL23check_matrix_csr_deviceILj256ELj32EfiiEEvT3_S1_T2_PKT1_PKS2_PKS1_S9_21rocsparse_index_base_22rocsparse_matrix_type_20rocsparse_fill_mode_23rocsparse_storage_mode_P22rocsparse_data_status_
                                        ; -- End function
	.set _ZN9rocsparseL23check_matrix_csr_deviceILj256ELj32EfiiEEvT3_S1_T2_PKT1_PKS2_PKS1_S9_21rocsparse_index_base_22rocsparse_matrix_type_20rocsparse_fill_mode_23rocsparse_storage_mode_P22rocsparse_data_status_.num_vgpr, 10
	.set _ZN9rocsparseL23check_matrix_csr_deviceILj256ELj32EfiiEEvT3_S1_T2_PKT1_PKS2_PKS1_S9_21rocsparse_index_base_22rocsparse_matrix_type_20rocsparse_fill_mode_23rocsparse_storage_mode_P22rocsparse_data_status_.num_agpr, 0
	.set _ZN9rocsparseL23check_matrix_csr_deviceILj256ELj32EfiiEEvT3_S1_T2_PKT1_PKS2_PKS1_S9_21rocsparse_index_base_22rocsparse_matrix_type_20rocsparse_fill_mode_23rocsparse_storage_mode_P22rocsparse_data_status_.numbered_sgpr, 29
	.set _ZN9rocsparseL23check_matrix_csr_deviceILj256ELj32EfiiEEvT3_S1_T2_PKT1_PKS2_PKS1_S9_21rocsparse_index_base_22rocsparse_matrix_type_20rocsparse_fill_mode_23rocsparse_storage_mode_P22rocsparse_data_status_.num_named_barrier, 0
	.set _ZN9rocsparseL23check_matrix_csr_deviceILj256ELj32EfiiEEvT3_S1_T2_PKT1_PKS2_PKS1_S9_21rocsparse_index_base_22rocsparse_matrix_type_20rocsparse_fill_mode_23rocsparse_storage_mode_P22rocsparse_data_status_.private_seg_size, 0
	.set _ZN9rocsparseL23check_matrix_csr_deviceILj256ELj32EfiiEEvT3_S1_T2_PKT1_PKS2_PKS1_S9_21rocsparse_index_base_22rocsparse_matrix_type_20rocsparse_fill_mode_23rocsparse_storage_mode_P22rocsparse_data_status_.uses_vcc, 1
	.set _ZN9rocsparseL23check_matrix_csr_deviceILj256ELj32EfiiEEvT3_S1_T2_PKT1_PKS2_PKS1_S9_21rocsparse_index_base_22rocsparse_matrix_type_20rocsparse_fill_mode_23rocsparse_storage_mode_P22rocsparse_data_status_.uses_flat_scratch, 0
	.set _ZN9rocsparseL23check_matrix_csr_deviceILj256ELj32EfiiEEvT3_S1_T2_PKT1_PKS2_PKS1_S9_21rocsparse_index_base_22rocsparse_matrix_type_20rocsparse_fill_mode_23rocsparse_storage_mode_P22rocsparse_data_status_.has_dyn_sized_stack, 0
	.set _ZN9rocsparseL23check_matrix_csr_deviceILj256ELj32EfiiEEvT3_S1_T2_PKT1_PKS2_PKS1_S9_21rocsparse_index_base_22rocsparse_matrix_type_20rocsparse_fill_mode_23rocsparse_storage_mode_P22rocsparse_data_status_.has_recursion, 0
	.set _ZN9rocsparseL23check_matrix_csr_deviceILj256ELj32EfiiEEvT3_S1_T2_PKT1_PKS2_PKS1_S9_21rocsparse_index_base_22rocsparse_matrix_type_20rocsparse_fill_mode_23rocsparse_storage_mode_P22rocsparse_data_status_.has_indirect_call, 0
	.section	.AMDGPU.csdata,"",@progbits
; Kernel info:
; codeLenInByte = 1000
; TotalNumSgprs: 31
; NumVgprs: 10
; ScratchSize: 0
; MemoryBound: 0
; FloatMode: 240
; IeeeMode: 1
; LDSByteSize: 0 bytes/workgroup (compile time only)
; SGPRBlocks: 0
; VGPRBlocks: 0
; NumSGPRsForWavesPerEU: 31
; NumVGPRsForWavesPerEU: 10
; NamedBarCnt: 0
; Occupancy: 16
; WaveLimiterHint : 0
; COMPUTE_PGM_RSRC2:SCRATCH_EN: 0
; COMPUTE_PGM_RSRC2:USER_SGPR: 2
; COMPUTE_PGM_RSRC2:TRAP_HANDLER: 0
; COMPUTE_PGM_RSRC2:TGID_X_EN: 1
; COMPUTE_PGM_RSRC2:TGID_Y_EN: 0
; COMPUTE_PGM_RSRC2:TGID_Z_EN: 0
; COMPUTE_PGM_RSRC2:TIDIG_COMP_CNT: 0
	.section	.text._ZN9rocsparseL23check_matrix_csr_deviceILj256ELj64EfiiEEvT3_S1_T2_PKT1_PKS2_PKS1_S9_21rocsparse_index_base_22rocsparse_matrix_type_20rocsparse_fill_mode_23rocsparse_storage_mode_P22rocsparse_data_status_,"axG",@progbits,_ZN9rocsparseL23check_matrix_csr_deviceILj256ELj64EfiiEEvT3_S1_T2_PKT1_PKS2_PKS1_S9_21rocsparse_index_base_22rocsparse_matrix_type_20rocsparse_fill_mode_23rocsparse_storage_mode_P22rocsparse_data_status_,comdat
	.globl	_ZN9rocsparseL23check_matrix_csr_deviceILj256ELj64EfiiEEvT3_S1_T2_PKT1_PKS2_PKS1_S9_21rocsparse_index_base_22rocsparse_matrix_type_20rocsparse_fill_mode_23rocsparse_storage_mode_P22rocsparse_data_status_ ; -- Begin function _ZN9rocsparseL23check_matrix_csr_deviceILj256ELj64EfiiEEvT3_S1_T2_PKT1_PKS2_PKS1_S9_21rocsparse_index_base_22rocsparse_matrix_type_20rocsparse_fill_mode_23rocsparse_storage_mode_P22rocsparse_data_status_
	.p2align	8
	.type	_ZN9rocsparseL23check_matrix_csr_deviceILj256ELj64EfiiEEvT3_S1_T2_PKT1_PKS2_PKS1_S9_21rocsparse_index_base_22rocsparse_matrix_type_20rocsparse_fill_mode_23rocsparse_storage_mode_P22rocsparse_data_status_,@function
_ZN9rocsparseL23check_matrix_csr_deviceILj256ELj64EfiiEEvT3_S1_T2_PKT1_PKS2_PKS1_S9_21rocsparse_index_base_22rocsparse_matrix_type_20rocsparse_fill_mode_23rocsparse_storage_mode_P22rocsparse_data_status_: ; @_ZN9rocsparseL23check_matrix_csr_deviceILj256ELj64EfiiEEvT3_S1_T2_PKT1_PKS2_PKS1_S9_21rocsparse_index_base_22rocsparse_matrix_type_20rocsparse_fill_mode_23rocsparse_storage_mode_P22rocsparse_data_status_
; %bb.0:
	s_bfe_u32 s2, ttmp6, 0x4000c
	s_load_b64 s[12:13], s[0:1], 0x0
	s_add_co_i32 s2, s2, 1
	s_and_b32 s3, ttmp6, 15
	s_mul_i32 s2, ttmp9, s2
	s_getreg_b32 s4, hwreg(HW_REG_IB_STS2, 6, 4)
	s_add_co_i32 s3, s3, s2
	s_cmp_eq_u32 s4, 0
	s_cselect_b32 s2, ttmp9, s3
	s_delay_alu instid0(SALU_CYCLE_1) | instskip(SKIP_1) | instid1(VALU_DEP_1)
	v_lshl_or_b32 v1, s2, 8, v0
	s_mov_b32 s2, exec_lo
	v_lshrrev_b32_e32 v2, 6, v1
	s_wait_kmcnt 0x0
	s_delay_alu instid0(VALU_DEP_1)
	v_cmpx_gt_i32_e64 s12, v2
	s_cbranch_execz .LBB6_31
; %bb.1:
	s_load_b64 s[2:3], s[0:1], 0x18
	v_dual_lshlrev_b32 v1, 2, v2 :: v_dual_mov_b32 v5, 3
	s_wait_kmcnt 0x0
	global_load_b64 v[6:7], v1, s[2:3]
	s_wait_xcnt 0x0
	s_load_b32 s2, s[2:3], 0x0
	s_wait_loadcnt 0x0
	s_wait_kmcnt 0x0
	v_subrev_nc_u32_e32 v3, s2, v7
	v_subrev_nc_u32_e32 v4, s2, v6
	v_cmp_lt_i32_e64 s2, v7, v6
	s_delay_alu instid0(VALU_DEP_3) | instskip(NEXT) | instid1(VALU_DEP_3)
	v_cmp_gt_i32_e32 vcc_lo, 0, v3
	v_cmp_lt_i32_e64 s3, -1, v4
	s_or_b32 s2, vcc_lo, s2
	s_delay_alu instid0(SALU_CYCLE_1) | instskip(SKIP_2) | instid1(SALU_CYCLE_1)
	s_xor_b32 s4, s2, -1
	s_mov_b32 s2, -1
	s_and_b32 s3, s3, s4
	s_and_saveexec_b32 s12, s3
	s_cbranch_execz .LBB6_29
; %bb.2:
	v_dual_mov_b32 v5, 3 :: v_dual_bitop2_b32 v0, 63, v0 bitop3:0x40
	s_mov_b32 s2, 0
	s_mov_b32 s16, exec_lo
	s_delay_alu instid0(VALU_DEP_1) | instskip(NEXT) | instid1(VALU_DEP_1)
	v_add_nc_u32_e32 v0, v4, v0
	v_cmpx_lt_u32_e64 v0, v3
	s_cbranch_execz .LBB6_28
; %bb.3:
	s_clause 0x1
	s_load_b256 s[4:11], s[0:1], 0x20
	s_load_b64 s[14:15], s[0:1], 0x10
                                        ; implicit-def: $sgpr18
                                        ; implicit-def: $sgpr19
                                        ; implicit-def: $sgpr20
	s_wait_kmcnt 0x0
	s_cmp_lg_u32 s9, 0
	s_cselect_b32 s9, -1, 0
	s_cmp_lg_u32 s10, 0
	s_cselect_b32 s10, -1, 0
	s_cmp_lg_u32 s11, 0
	s_mov_b32 s11, 0
	s_cselect_b32 s17, -1, 0
	s_branch .LBB6_10
.LBB6_4:                                ;   in Loop: Header=BB6_10 Depth=1
	s_or_b32 exec_lo, exec_lo, s27
	s_delay_alu instid0(SALU_CYCLE_1)
	s_or_not1_b32 s28, s3, exec_lo
	s_or_not1_b32 s2, s25, exec_lo
.LBB6_5:                                ;   in Loop: Header=BB6_10 Depth=1
	s_or_b32 exec_lo, exec_lo, s26
	s_delay_alu instid0(SALU_CYCLE_1)
	s_or_not1_b32 s3, s28, exec_lo
	s_or_not1_b32 s2, s2, exec_lo
.LBB6_6:                                ;   in Loop: Header=BB6_10 Depth=1
	s_or_b32 exec_lo, exec_lo, s24
	s_delay_alu instid0(SALU_CYCLE_1)
	s_or_not1_b32 s3, s3, exec_lo
	s_or_not1_b32 s2, s2, exec_lo
.LBB6_7:                                ;   in Loop: Header=BB6_10 Depth=1
	s_or_b32 exec_lo, exec_lo, s23
	s_delay_alu instid0(SALU_CYCLE_1)
	s_or_not1_b32 s3, s3, exec_lo
	s_or_not1_b32 s2, s2, exec_lo
.LBB6_8:                                ;   in Loop: Header=BB6_10 Depth=1
	s_or_b32 exec_lo, exec_lo, s22
	s_delay_alu instid0(SALU_CYCLE_1)
	s_and_not1_b32 s20, s20, exec_lo
	s_and_b32 s3, s3, exec_lo
	s_and_not1_b32 s19, s19, exec_lo
	s_and_b32 s2, s2, exec_lo
	s_or_b32 s20, s20, s3
	s_or_b32 s19, s19, s2
.LBB6_9:                                ;   in Loop: Header=BB6_10 Depth=1
	s_or_b32 exec_lo, exec_lo, s21
	s_delay_alu instid0(SALU_CYCLE_1) | instskip(NEXT) | instid1(SALU_CYCLE_1)
	s_and_b32 s2, exec_lo, s19
	s_or_b32 s11, s2, s11
	s_and_not1_b32 s2, s18, exec_lo
	s_and_b32 s3, s20, exec_lo
	s_delay_alu instid0(SALU_CYCLE_1)
	s_or_b32 s18, s2, s3
	s_and_not1_b32 exec_lo, exec_lo, s11
	s_cbranch_execz .LBB6_27
.LBB6_10:                               ; =>This Inner Loop Header: Depth=1
	global_load_b32 v6, v0, s[4:5] scale_offset
	v_mov_b32_e32 v5, 4
	s_or_b32 s20, s20, exec_lo
	s_or_b32 s19, s19, exec_lo
	s_wait_loadcnt 0x0
	v_subrev_nc_u32_e32 v7, s8, v6
	s_delay_alu instid0(VALU_DEP_1) | instskip(SKIP_2) | instid1(SALU_CYCLE_1)
	v_cmp_lt_i32_e32 vcc_lo, -1, v7
	v_cmp_gt_i32_e64 s2, s13, v7
	s_and_b32 s2, vcc_lo, s2
	s_and_saveexec_b32 s21, s2
	s_cbranch_execz .LBB6_9
; %bb.11:                               ;   in Loop: Header=BB6_10 Depth=1
	v_cmp_le_i32_e64 s25, v0, v4
	v_dual_ashrrev_i32 v1, 31, v0 :: v_dual_mov_b32 v5, 4
	s_mov_b32 s22, exec_lo
	s_mov_b32 s23, s25
	v_cmpx_gt_i32_e64 v0, v4
	s_cbranch_execz .LBB6_13
; %bb.12:                               ;   in Loop: Header=BB6_10 Depth=1
	v_lshl_add_u64 v[8:9], v[0:1], 2, s[6:7]
	global_load_b64 v[8:9], v[8:9], off offset:-4
	s_wait_loadcnt 0x0
	v_subrev_nc_u32_e32 v5, s8, v8
	v_cmp_ne_u32_e64 s3, v9, v8
	s_delay_alu instid0(VALU_DEP_2) | instskip(SKIP_3) | instid1(SALU_CYCLE_1)
	v_cmp_lt_i32_e32 vcc_lo, -1, v5
	v_cmp_gt_i32_e64 s2, s13, v5
	v_mov_b32_e32 v5, 5
	s_and_b32 s2, vcc_lo, s2
	s_xor_b32 s2, s2, -1
	s_delay_alu instid0(SALU_CYCLE_1) | instskip(SKIP_2) | instid1(SALU_CYCLE_1)
	s_or_b32 s2, s3, s2
	s_and_not1_b32 s3, s25, exec_lo
	s_and_b32 s2, s2, exec_lo
	s_or_b32 s23, s3, s2
.LBB6_13:                               ;   in Loop: Header=BB6_10 Depth=1
	s_or_b32 exec_lo, exec_lo, s22
	s_mov_b32 s2, -1
	s_mov_b32 s3, -1
	s_and_saveexec_b32 s22, s23
	s_cbranch_execz .LBB6_8
; %bb.14:                               ;   in Loop: Header=BB6_10 Depth=1
	v_lshl_add_u64 v[8:9], v[0:1], 2, s[14:15]
	v_mov_b32_e32 v5, 1
	s_mov_b32 s23, exec_lo
	global_load_b32 v8, v[8:9], off
	s_wait_loadcnt 0x0
	v_cmpx_neq_f32_e32 0x7f800000, v8
	s_cbranch_execz .LBB6_7
; %bb.15:                               ;   in Loop: Header=BB6_10 Depth=1
	v_mov_b32_e32 v5, 2
	s_mov_b32 s24, exec_lo
	v_cmpx_o_f32_e32 v8, v8
	s_cbranch_execz .LBB6_6
; %bb.16:                               ;   in Loop: Header=BB6_10 Depth=1
	s_and_b32 vcc_lo, exec_lo, s9
	s_cbranch_vccz .LBB6_19
; %bb.17:                               ;   in Loop: Header=BB6_10 Depth=1
	s_and_b32 vcc_lo, exec_lo, s10
	s_cbranch_vccz .LBB6_20
; %bb.18:                               ;   in Loop: Header=BB6_10 Depth=1
	v_cmp_le_i32_e32 vcc_lo, v2, v7
	s_mov_b32 s3, 7
	s_and_b32 s27, vcc_lo, exec_lo
	s_cbranch_execz .LBB6_21
	s_branch .LBB6_22
.LBB6_19:                               ;   in Loop: Header=BB6_10 Depth=1
	s_mov_b32 s3, 2
	s_mov_b32 s27, -1
	s_branch .LBB6_22
.LBB6_20:                               ;   in Loop: Header=BB6_10 Depth=1
	s_mov_b32 s27, 0
	s_mov_b32 s3, 2
.LBB6_21:                               ;   in Loop: Header=BB6_10 Depth=1
	v_cmp_ge_i32_e32 vcc_lo, v2, v7
	s_and_not1_b32 s26, s27, exec_lo
	s_mov_b32 s3, 7
	s_and_b32 s27, vcc_lo, exec_lo
	s_delay_alu instid0(SALU_CYCLE_1)
	s_or_b32 s27, s26, s27
.LBB6_22:                               ;   in Loop: Header=BB6_10 Depth=1
	v_mov_b32_e32 v5, s3
	s_mov_b32 s28, -1
	s_and_saveexec_b32 s26, s27
	s_cbranch_execz .LBB6_5
; %bb.23:                               ;   in Loop: Header=BB6_10 Depth=1
	v_mov_b32_e32 v5, s3
	s_nor_b32 s3, s17, s25
	s_mov_b32 s25, -1
	s_and_saveexec_b32 s27, s3
	s_cbranch_execz .LBB6_25
; %bb.24:                               ;   in Loop: Header=BB6_10 Depth=1
	v_lshl_add_u64 v[8:9], v[0:1], 2, s[4:5]
	global_load_b32 v1, v[8:9], off offset:-4
	s_wait_loadcnt 0x0
	v_subrev_nc_u32_e32 v5, s8, v1
	v_cmp_gt_i32_e64 s3, v6, v1
	s_delay_alu instid0(VALU_DEP_2) | instskip(SKIP_3) | instid1(SALU_CYCLE_1)
	v_cmp_lt_i32_e32 vcc_lo, -1, v5
	v_cmp_gt_i32_e64 s2, s13, v5
	v_mov_b32_e32 v5, 6
	s_and_b32 s2, vcc_lo, s2
	s_xor_b32 s2, s2, -1
	s_delay_alu instid0(SALU_CYCLE_1) | instskip(NEXT) | instid1(SALU_CYCLE_1)
	s_or_b32 s2, s3, s2
	s_or_not1_b32 s2, s2, exec_lo
.LBB6_25:                               ;   in Loop: Header=BB6_10 Depth=1
	s_or_b32 exec_lo, exec_lo, s27
	s_mov_b32 s3, -1
	s_and_saveexec_b32 s27, s2
	s_cbranch_execz .LBB6_4
; %bb.26:                               ;   in Loop: Header=BB6_10 Depth=1
	v_add_nc_u32_e32 v0, 64, v0
	s_xor_b32 s3, exec_lo, -1
	s_delay_alu instid0(VALU_DEP_1)
	v_cmp_ge_i32_e32 vcc_lo, v0, v3
	s_or_not1_b32 s25, vcc_lo, exec_lo
	s_branch .LBB6_4
.LBB6_27:
	s_or_b32 exec_lo, exec_lo, s11
	s_delay_alu instid0(SALU_CYCLE_1)
	s_and_b32 s2, s18, exec_lo
.LBB6_28:
	s_or_b32 exec_lo, exec_lo, s16
	s_delay_alu instid0(SALU_CYCLE_1)
	s_or_not1_b32 s2, s2, exec_lo
.LBB6_29:
	s_or_b32 exec_lo, exec_lo, s12
	s_delay_alu instid0(SALU_CYCLE_1)
	s_and_b32 exec_lo, exec_lo, s2
	s_cbranch_execz .LBB6_31
; %bb.30:
	s_load_b64 s[0:1], s[0:1], 0x40
	v_mov_b32_e32 v0, 0
	s_wait_kmcnt 0x0
	global_store_b32 v0, v5, s[0:1]
.LBB6_31:
	s_endpgm
	.section	.rodata,"a",@progbits
	.p2align	6, 0x0
	.amdhsa_kernel _ZN9rocsparseL23check_matrix_csr_deviceILj256ELj64EfiiEEvT3_S1_T2_PKT1_PKS2_PKS1_S9_21rocsparse_index_base_22rocsparse_matrix_type_20rocsparse_fill_mode_23rocsparse_storage_mode_P22rocsparse_data_status_
		.amdhsa_group_segment_fixed_size 0
		.amdhsa_private_segment_fixed_size 0
		.amdhsa_kernarg_size 72
		.amdhsa_user_sgpr_count 2
		.amdhsa_user_sgpr_dispatch_ptr 0
		.amdhsa_user_sgpr_queue_ptr 0
		.amdhsa_user_sgpr_kernarg_segment_ptr 1
		.amdhsa_user_sgpr_dispatch_id 0
		.amdhsa_user_sgpr_kernarg_preload_length 0
		.amdhsa_user_sgpr_kernarg_preload_offset 0
		.amdhsa_user_sgpr_private_segment_size 0
		.amdhsa_wavefront_size32 1
		.amdhsa_uses_dynamic_stack 0
		.amdhsa_enable_private_segment 0
		.amdhsa_system_sgpr_workgroup_id_x 1
		.amdhsa_system_sgpr_workgroup_id_y 0
		.amdhsa_system_sgpr_workgroup_id_z 0
		.amdhsa_system_sgpr_workgroup_info 0
		.amdhsa_system_vgpr_workitem_id 0
		.amdhsa_next_free_vgpr 10
		.amdhsa_next_free_sgpr 29
		.amdhsa_named_barrier_count 0
		.amdhsa_reserve_vcc 1
		.amdhsa_float_round_mode_32 0
		.amdhsa_float_round_mode_16_64 0
		.amdhsa_float_denorm_mode_32 3
		.amdhsa_float_denorm_mode_16_64 3
		.amdhsa_fp16_overflow 0
		.amdhsa_memory_ordered 1
		.amdhsa_forward_progress 1
		.amdhsa_inst_pref_size 8
		.amdhsa_round_robin_scheduling 0
		.amdhsa_exception_fp_ieee_invalid_op 0
		.amdhsa_exception_fp_denorm_src 0
		.amdhsa_exception_fp_ieee_div_zero 0
		.amdhsa_exception_fp_ieee_overflow 0
		.amdhsa_exception_fp_ieee_underflow 0
		.amdhsa_exception_fp_ieee_inexact 0
		.amdhsa_exception_int_div_zero 0
	.end_amdhsa_kernel
	.section	.text._ZN9rocsparseL23check_matrix_csr_deviceILj256ELj64EfiiEEvT3_S1_T2_PKT1_PKS2_PKS1_S9_21rocsparse_index_base_22rocsparse_matrix_type_20rocsparse_fill_mode_23rocsparse_storage_mode_P22rocsparse_data_status_,"axG",@progbits,_ZN9rocsparseL23check_matrix_csr_deviceILj256ELj64EfiiEEvT3_S1_T2_PKT1_PKS2_PKS1_S9_21rocsparse_index_base_22rocsparse_matrix_type_20rocsparse_fill_mode_23rocsparse_storage_mode_P22rocsparse_data_status_,comdat
.Lfunc_end6:
	.size	_ZN9rocsparseL23check_matrix_csr_deviceILj256ELj64EfiiEEvT3_S1_T2_PKT1_PKS2_PKS1_S9_21rocsparse_index_base_22rocsparse_matrix_type_20rocsparse_fill_mode_23rocsparse_storage_mode_P22rocsparse_data_status_, .Lfunc_end6-_ZN9rocsparseL23check_matrix_csr_deviceILj256ELj64EfiiEEvT3_S1_T2_PKT1_PKS2_PKS1_S9_21rocsparse_index_base_22rocsparse_matrix_type_20rocsparse_fill_mode_23rocsparse_storage_mode_P22rocsparse_data_status_
                                        ; -- End function
	.set _ZN9rocsparseL23check_matrix_csr_deviceILj256ELj64EfiiEEvT3_S1_T2_PKT1_PKS2_PKS1_S9_21rocsparse_index_base_22rocsparse_matrix_type_20rocsparse_fill_mode_23rocsparse_storage_mode_P22rocsparse_data_status_.num_vgpr, 10
	.set _ZN9rocsparseL23check_matrix_csr_deviceILj256ELj64EfiiEEvT3_S1_T2_PKT1_PKS2_PKS1_S9_21rocsparse_index_base_22rocsparse_matrix_type_20rocsparse_fill_mode_23rocsparse_storage_mode_P22rocsparse_data_status_.num_agpr, 0
	.set _ZN9rocsparseL23check_matrix_csr_deviceILj256ELj64EfiiEEvT3_S1_T2_PKT1_PKS2_PKS1_S9_21rocsparse_index_base_22rocsparse_matrix_type_20rocsparse_fill_mode_23rocsparse_storage_mode_P22rocsparse_data_status_.numbered_sgpr, 29
	.set _ZN9rocsparseL23check_matrix_csr_deviceILj256ELj64EfiiEEvT3_S1_T2_PKT1_PKS2_PKS1_S9_21rocsparse_index_base_22rocsparse_matrix_type_20rocsparse_fill_mode_23rocsparse_storage_mode_P22rocsparse_data_status_.num_named_barrier, 0
	.set _ZN9rocsparseL23check_matrix_csr_deviceILj256ELj64EfiiEEvT3_S1_T2_PKT1_PKS2_PKS1_S9_21rocsparse_index_base_22rocsparse_matrix_type_20rocsparse_fill_mode_23rocsparse_storage_mode_P22rocsparse_data_status_.private_seg_size, 0
	.set _ZN9rocsparseL23check_matrix_csr_deviceILj256ELj64EfiiEEvT3_S1_T2_PKT1_PKS2_PKS1_S9_21rocsparse_index_base_22rocsparse_matrix_type_20rocsparse_fill_mode_23rocsparse_storage_mode_P22rocsparse_data_status_.uses_vcc, 1
	.set _ZN9rocsparseL23check_matrix_csr_deviceILj256ELj64EfiiEEvT3_S1_T2_PKT1_PKS2_PKS1_S9_21rocsparse_index_base_22rocsparse_matrix_type_20rocsparse_fill_mode_23rocsparse_storage_mode_P22rocsparse_data_status_.uses_flat_scratch, 0
	.set _ZN9rocsparseL23check_matrix_csr_deviceILj256ELj64EfiiEEvT3_S1_T2_PKT1_PKS2_PKS1_S9_21rocsparse_index_base_22rocsparse_matrix_type_20rocsparse_fill_mode_23rocsparse_storage_mode_P22rocsparse_data_status_.has_dyn_sized_stack, 0
	.set _ZN9rocsparseL23check_matrix_csr_deviceILj256ELj64EfiiEEvT3_S1_T2_PKT1_PKS2_PKS1_S9_21rocsparse_index_base_22rocsparse_matrix_type_20rocsparse_fill_mode_23rocsparse_storage_mode_P22rocsparse_data_status_.has_recursion, 0
	.set _ZN9rocsparseL23check_matrix_csr_deviceILj256ELj64EfiiEEvT3_S1_T2_PKT1_PKS2_PKS1_S9_21rocsparse_index_base_22rocsparse_matrix_type_20rocsparse_fill_mode_23rocsparse_storage_mode_P22rocsparse_data_status_.has_indirect_call, 0
	.section	.AMDGPU.csdata,"",@progbits
; Kernel info:
; codeLenInByte = 1000
; TotalNumSgprs: 31
; NumVgprs: 10
; ScratchSize: 0
; MemoryBound: 0
; FloatMode: 240
; IeeeMode: 1
; LDSByteSize: 0 bytes/workgroup (compile time only)
; SGPRBlocks: 0
; VGPRBlocks: 0
; NumSGPRsForWavesPerEU: 31
; NumVGPRsForWavesPerEU: 10
; NamedBarCnt: 0
; Occupancy: 16
; WaveLimiterHint : 0
; COMPUTE_PGM_RSRC2:SCRATCH_EN: 0
; COMPUTE_PGM_RSRC2:USER_SGPR: 2
; COMPUTE_PGM_RSRC2:TRAP_HANDLER: 0
; COMPUTE_PGM_RSRC2:TGID_X_EN: 1
; COMPUTE_PGM_RSRC2:TGID_Y_EN: 0
; COMPUTE_PGM_RSRC2:TGID_Z_EN: 0
; COMPUTE_PGM_RSRC2:TIDIG_COMP_CNT: 0
	.section	.text._ZN9rocsparseL23check_matrix_csr_deviceILj256ELj128EfiiEEvT3_S1_T2_PKT1_PKS2_PKS1_S9_21rocsparse_index_base_22rocsparse_matrix_type_20rocsparse_fill_mode_23rocsparse_storage_mode_P22rocsparse_data_status_,"axG",@progbits,_ZN9rocsparseL23check_matrix_csr_deviceILj256ELj128EfiiEEvT3_S1_T2_PKT1_PKS2_PKS1_S9_21rocsparse_index_base_22rocsparse_matrix_type_20rocsparse_fill_mode_23rocsparse_storage_mode_P22rocsparse_data_status_,comdat
	.globl	_ZN9rocsparseL23check_matrix_csr_deviceILj256ELj128EfiiEEvT3_S1_T2_PKT1_PKS2_PKS1_S9_21rocsparse_index_base_22rocsparse_matrix_type_20rocsparse_fill_mode_23rocsparse_storage_mode_P22rocsparse_data_status_ ; -- Begin function _ZN9rocsparseL23check_matrix_csr_deviceILj256ELj128EfiiEEvT3_S1_T2_PKT1_PKS2_PKS1_S9_21rocsparse_index_base_22rocsparse_matrix_type_20rocsparse_fill_mode_23rocsparse_storage_mode_P22rocsparse_data_status_
	.p2align	8
	.type	_ZN9rocsparseL23check_matrix_csr_deviceILj256ELj128EfiiEEvT3_S1_T2_PKT1_PKS2_PKS1_S9_21rocsparse_index_base_22rocsparse_matrix_type_20rocsparse_fill_mode_23rocsparse_storage_mode_P22rocsparse_data_status_,@function
_ZN9rocsparseL23check_matrix_csr_deviceILj256ELj128EfiiEEvT3_S1_T2_PKT1_PKS2_PKS1_S9_21rocsparse_index_base_22rocsparse_matrix_type_20rocsparse_fill_mode_23rocsparse_storage_mode_P22rocsparse_data_status_: ; @_ZN9rocsparseL23check_matrix_csr_deviceILj256ELj128EfiiEEvT3_S1_T2_PKT1_PKS2_PKS1_S9_21rocsparse_index_base_22rocsparse_matrix_type_20rocsparse_fill_mode_23rocsparse_storage_mode_P22rocsparse_data_status_
; %bb.0:
	s_bfe_u32 s2, ttmp6, 0x4000c
	s_load_b64 s[12:13], s[0:1], 0x0
	s_add_co_i32 s2, s2, 1
	s_and_b32 s3, ttmp6, 15
	s_mul_i32 s2, ttmp9, s2
	s_getreg_b32 s4, hwreg(HW_REG_IB_STS2, 6, 4)
	s_add_co_i32 s3, s3, s2
	s_cmp_eq_u32 s4, 0
	s_cselect_b32 s2, ttmp9, s3
	s_delay_alu instid0(SALU_CYCLE_1) | instskip(SKIP_1) | instid1(VALU_DEP_1)
	v_lshl_or_b32 v1, s2, 8, v0
	s_mov_b32 s2, exec_lo
	v_lshrrev_b32_e32 v2, 7, v1
	s_wait_kmcnt 0x0
	s_delay_alu instid0(VALU_DEP_1)
	v_cmpx_gt_i32_e64 s12, v2
	s_cbranch_execz .LBB7_31
; %bb.1:
	s_load_b64 s[2:3], s[0:1], 0x18
	v_dual_lshlrev_b32 v1, 2, v2 :: v_dual_mov_b32 v5, 3
	s_wait_kmcnt 0x0
	global_load_b64 v[6:7], v1, s[2:3]
	s_wait_xcnt 0x0
	s_load_b32 s2, s[2:3], 0x0
	s_wait_loadcnt 0x0
	s_wait_kmcnt 0x0
	v_subrev_nc_u32_e32 v3, s2, v7
	v_subrev_nc_u32_e32 v4, s2, v6
	v_cmp_lt_i32_e64 s2, v7, v6
	s_delay_alu instid0(VALU_DEP_3) | instskip(NEXT) | instid1(VALU_DEP_3)
	v_cmp_gt_i32_e32 vcc_lo, 0, v3
	v_cmp_lt_i32_e64 s3, -1, v4
	s_or_b32 s2, vcc_lo, s2
	s_delay_alu instid0(SALU_CYCLE_1) | instskip(SKIP_2) | instid1(SALU_CYCLE_1)
	s_xor_b32 s4, s2, -1
	s_mov_b32 s2, -1
	s_and_b32 s3, s3, s4
	s_and_saveexec_b32 s12, s3
	s_cbranch_execz .LBB7_29
; %bb.2:
	v_and_b32_e32 v0, 0x7f, v0
	s_mov_b32 s2, 0
	s_mov_b32 s16, exec_lo
	s_delay_alu instid0(VALU_DEP_1) | instskip(NEXT) | instid1(VALU_DEP_1)
	v_dual_mov_b32 v5, 3 :: v_dual_add_nc_u32 v0, v4, v0
	v_cmpx_lt_u32_e64 v0, v3
	s_cbranch_execz .LBB7_28
; %bb.3:
	s_clause 0x1
	s_load_b256 s[4:11], s[0:1], 0x20
	s_load_b64 s[14:15], s[0:1], 0x10
                                        ; implicit-def: $sgpr18
                                        ; implicit-def: $sgpr19
                                        ; implicit-def: $sgpr20
	s_wait_kmcnt 0x0
	s_cmp_lg_u32 s9, 0
	s_cselect_b32 s9, -1, 0
	s_cmp_lg_u32 s10, 0
	s_cselect_b32 s10, -1, 0
	s_cmp_lg_u32 s11, 0
	s_mov_b32 s11, 0
	s_cselect_b32 s17, -1, 0
	s_branch .LBB7_10
.LBB7_4:                                ;   in Loop: Header=BB7_10 Depth=1
	s_or_b32 exec_lo, exec_lo, s27
	s_delay_alu instid0(SALU_CYCLE_1)
	s_or_not1_b32 s28, s3, exec_lo
	s_or_not1_b32 s2, s25, exec_lo
.LBB7_5:                                ;   in Loop: Header=BB7_10 Depth=1
	s_or_b32 exec_lo, exec_lo, s26
	s_delay_alu instid0(SALU_CYCLE_1)
	s_or_not1_b32 s3, s28, exec_lo
	s_or_not1_b32 s2, s2, exec_lo
.LBB7_6:                                ;   in Loop: Header=BB7_10 Depth=1
	s_or_b32 exec_lo, exec_lo, s24
	s_delay_alu instid0(SALU_CYCLE_1)
	s_or_not1_b32 s3, s3, exec_lo
	s_or_not1_b32 s2, s2, exec_lo
.LBB7_7:                                ;   in Loop: Header=BB7_10 Depth=1
	s_or_b32 exec_lo, exec_lo, s23
	s_delay_alu instid0(SALU_CYCLE_1)
	s_or_not1_b32 s3, s3, exec_lo
	s_or_not1_b32 s2, s2, exec_lo
.LBB7_8:                                ;   in Loop: Header=BB7_10 Depth=1
	s_or_b32 exec_lo, exec_lo, s22
	s_delay_alu instid0(SALU_CYCLE_1)
	s_and_not1_b32 s20, s20, exec_lo
	s_and_b32 s3, s3, exec_lo
	s_and_not1_b32 s19, s19, exec_lo
	s_and_b32 s2, s2, exec_lo
	s_or_b32 s20, s20, s3
	s_or_b32 s19, s19, s2
.LBB7_9:                                ;   in Loop: Header=BB7_10 Depth=1
	s_or_b32 exec_lo, exec_lo, s21
	s_delay_alu instid0(SALU_CYCLE_1) | instskip(NEXT) | instid1(SALU_CYCLE_1)
	s_and_b32 s2, exec_lo, s19
	s_or_b32 s11, s2, s11
	s_and_not1_b32 s2, s18, exec_lo
	s_and_b32 s3, s20, exec_lo
	s_delay_alu instid0(SALU_CYCLE_1)
	s_or_b32 s18, s2, s3
	s_and_not1_b32 exec_lo, exec_lo, s11
	s_cbranch_execz .LBB7_27
.LBB7_10:                               ; =>This Inner Loop Header: Depth=1
	global_load_b32 v6, v0, s[4:5] scale_offset
	v_mov_b32_e32 v5, 4
	s_or_b32 s20, s20, exec_lo
	s_or_b32 s19, s19, exec_lo
	s_wait_loadcnt 0x0
	v_subrev_nc_u32_e32 v7, s8, v6
	s_delay_alu instid0(VALU_DEP_1) | instskip(SKIP_2) | instid1(SALU_CYCLE_1)
	v_cmp_lt_i32_e32 vcc_lo, -1, v7
	v_cmp_gt_i32_e64 s2, s13, v7
	s_and_b32 s2, vcc_lo, s2
	s_and_saveexec_b32 s21, s2
	s_cbranch_execz .LBB7_9
; %bb.11:                               ;   in Loop: Header=BB7_10 Depth=1
	v_cmp_le_i32_e64 s25, v0, v4
	v_dual_ashrrev_i32 v1, 31, v0 :: v_dual_mov_b32 v5, 4
	s_mov_b32 s22, exec_lo
	s_mov_b32 s23, s25
	v_cmpx_gt_i32_e64 v0, v4
	s_cbranch_execz .LBB7_13
; %bb.12:                               ;   in Loop: Header=BB7_10 Depth=1
	v_lshl_add_u64 v[8:9], v[0:1], 2, s[6:7]
	global_load_b64 v[8:9], v[8:9], off offset:-4
	s_wait_loadcnt 0x0
	v_subrev_nc_u32_e32 v5, s8, v8
	v_cmp_ne_u32_e64 s3, v9, v8
	s_delay_alu instid0(VALU_DEP_2) | instskip(SKIP_3) | instid1(SALU_CYCLE_1)
	v_cmp_lt_i32_e32 vcc_lo, -1, v5
	v_cmp_gt_i32_e64 s2, s13, v5
	v_mov_b32_e32 v5, 5
	s_and_b32 s2, vcc_lo, s2
	s_xor_b32 s2, s2, -1
	s_delay_alu instid0(SALU_CYCLE_1) | instskip(SKIP_2) | instid1(SALU_CYCLE_1)
	s_or_b32 s2, s3, s2
	s_and_not1_b32 s3, s25, exec_lo
	s_and_b32 s2, s2, exec_lo
	s_or_b32 s23, s3, s2
.LBB7_13:                               ;   in Loop: Header=BB7_10 Depth=1
	s_or_b32 exec_lo, exec_lo, s22
	s_mov_b32 s2, -1
	s_mov_b32 s3, -1
	s_and_saveexec_b32 s22, s23
	s_cbranch_execz .LBB7_8
; %bb.14:                               ;   in Loop: Header=BB7_10 Depth=1
	v_lshl_add_u64 v[8:9], v[0:1], 2, s[14:15]
	v_mov_b32_e32 v5, 1
	s_mov_b32 s23, exec_lo
	global_load_b32 v8, v[8:9], off
	s_wait_loadcnt 0x0
	v_cmpx_neq_f32_e32 0x7f800000, v8
	s_cbranch_execz .LBB7_7
; %bb.15:                               ;   in Loop: Header=BB7_10 Depth=1
	v_mov_b32_e32 v5, 2
	s_mov_b32 s24, exec_lo
	v_cmpx_o_f32_e32 v8, v8
	s_cbranch_execz .LBB7_6
; %bb.16:                               ;   in Loop: Header=BB7_10 Depth=1
	s_and_b32 vcc_lo, exec_lo, s9
	s_cbranch_vccz .LBB7_19
; %bb.17:                               ;   in Loop: Header=BB7_10 Depth=1
	s_and_b32 vcc_lo, exec_lo, s10
	s_cbranch_vccz .LBB7_20
; %bb.18:                               ;   in Loop: Header=BB7_10 Depth=1
	v_cmp_le_i32_e32 vcc_lo, v2, v7
	s_mov_b32 s3, 7
	s_and_b32 s27, vcc_lo, exec_lo
	s_cbranch_execz .LBB7_21
	s_branch .LBB7_22
.LBB7_19:                               ;   in Loop: Header=BB7_10 Depth=1
	s_mov_b32 s3, 2
	s_mov_b32 s27, -1
	s_branch .LBB7_22
.LBB7_20:                               ;   in Loop: Header=BB7_10 Depth=1
	s_mov_b32 s27, 0
	s_mov_b32 s3, 2
.LBB7_21:                               ;   in Loop: Header=BB7_10 Depth=1
	v_cmp_ge_i32_e32 vcc_lo, v2, v7
	s_and_not1_b32 s26, s27, exec_lo
	s_mov_b32 s3, 7
	s_and_b32 s27, vcc_lo, exec_lo
	s_delay_alu instid0(SALU_CYCLE_1)
	s_or_b32 s27, s26, s27
.LBB7_22:                               ;   in Loop: Header=BB7_10 Depth=1
	v_mov_b32_e32 v5, s3
	s_mov_b32 s28, -1
	s_and_saveexec_b32 s26, s27
	s_cbranch_execz .LBB7_5
; %bb.23:                               ;   in Loop: Header=BB7_10 Depth=1
	v_mov_b32_e32 v5, s3
	s_nor_b32 s3, s17, s25
	s_mov_b32 s25, -1
	s_and_saveexec_b32 s27, s3
	s_cbranch_execz .LBB7_25
; %bb.24:                               ;   in Loop: Header=BB7_10 Depth=1
	v_lshl_add_u64 v[8:9], v[0:1], 2, s[4:5]
	global_load_b32 v1, v[8:9], off offset:-4
	s_wait_loadcnt 0x0
	v_subrev_nc_u32_e32 v5, s8, v1
	v_cmp_gt_i32_e64 s3, v6, v1
	s_delay_alu instid0(VALU_DEP_2) | instskip(SKIP_3) | instid1(SALU_CYCLE_1)
	v_cmp_lt_i32_e32 vcc_lo, -1, v5
	v_cmp_gt_i32_e64 s2, s13, v5
	v_mov_b32_e32 v5, 6
	s_and_b32 s2, vcc_lo, s2
	s_xor_b32 s2, s2, -1
	s_delay_alu instid0(SALU_CYCLE_1) | instskip(NEXT) | instid1(SALU_CYCLE_1)
	s_or_b32 s2, s3, s2
	s_or_not1_b32 s2, s2, exec_lo
.LBB7_25:                               ;   in Loop: Header=BB7_10 Depth=1
	s_or_b32 exec_lo, exec_lo, s27
	s_mov_b32 s3, -1
	s_and_saveexec_b32 s27, s2
	s_cbranch_execz .LBB7_4
; %bb.26:                               ;   in Loop: Header=BB7_10 Depth=1
	v_add_nc_u32_e32 v0, 0x80, v0
	s_xor_b32 s3, exec_lo, -1
	s_delay_alu instid0(VALU_DEP_1)
	v_cmp_ge_i32_e32 vcc_lo, v0, v3
	s_or_not1_b32 s25, vcc_lo, exec_lo
	s_branch .LBB7_4
.LBB7_27:
	s_or_b32 exec_lo, exec_lo, s11
	s_delay_alu instid0(SALU_CYCLE_1)
	s_and_b32 s2, s18, exec_lo
.LBB7_28:
	s_or_b32 exec_lo, exec_lo, s16
	s_delay_alu instid0(SALU_CYCLE_1)
	s_or_not1_b32 s2, s2, exec_lo
.LBB7_29:
	s_or_b32 exec_lo, exec_lo, s12
	s_delay_alu instid0(SALU_CYCLE_1)
	s_and_b32 exec_lo, exec_lo, s2
	s_cbranch_execz .LBB7_31
; %bb.30:
	s_load_b64 s[0:1], s[0:1], 0x40
	v_mov_b32_e32 v0, 0
	s_wait_kmcnt 0x0
	global_store_b32 v0, v5, s[0:1]
.LBB7_31:
	s_endpgm
	.section	.rodata,"a",@progbits
	.p2align	6, 0x0
	.amdhsa_kernel _ZN9rocsparseL23check_matrix_csr_deviceILj256ELj128EfiiEEvT3_S1_T2_PKT1_PKS2_PKS1_S9_21rocsparse_index_base_22rocsparse_matrix_type_20rocsparse_fill_mode_23rocsparse_storage_mode_P22rocsparse_data_status_
		.amdhsa_group_segment_fixed_size 0
		.amdhsa_private_segment_fixed_size 0
		.amdhsa_kernarg_size 72
		.amdhsa_user_sgpr_count 2
		.amdhsa_user_sgpr_dispatch_ptr 0
		.amdhsa_user_sgpr_queue_ptr 0
		.amdhsa_user_sgpr_kernarg_segment_ptr 1
		.amdhsa_user_sgpr_dispatch_id 0
		.amdhsa_user_sgpr_kernarg_preload_length 0
		.amdhsa_user_sgpr_kernarg_preload_offset 0
		.amdhsa_user_sgpr_private_segment_size 0
		.amdhsa_wavefront_size32 1
		.amdhsa_uses_dynamic_stack 0
		.amdhsa_enable_private_segment 0
		.amdhsa_system_sgpr_workgroup_id_x 1
		.amdhsa_system_sgpr_workgroup_id_y 0
		.amdhsa_system_sgpr_workgroup_id_z 0
		.amdhsa_system_sgpr_workgroup_info 0
		.amdhsa_system_vgpr_workitem_id 0
		.amdhsa_next_free_vgpr 10
		.amdhsa_next_free_sgpr 29
		.amdhsa_named_barrier_count 0
		.amdhsa_reserve_vcc 1
		.amdhsa_float_round_mode_32 0
		.amdhsa_float_round_mode_16_64 0
		.amdhsa_float_denorm_mode_32 3
		.amdhsa_float_denorm_mode_16_64 3
		.amdhsa_fp16_overflow 0
		.amdhsa_memory_ordered 1
		.amdhsa_forward_progress 1
		.amdhsa_inst_pref_size 8
		.amdhsa_round_robin_scheduling 0
		.amdhsa_exception_fp_ieee_invalid_op 0
		.amdhsa_exception_fp_denorm_src 0
		.amdhsa_exception_fp_ieee_div_zero 0
		.amdhsa_exception_fp_ieee_overflow 0
		.amdhsa_exception_fp_ieee_underflow 0
		.amdhsa_exception_fp_ieee_inexact 0
		.amdhsa_exception_int_div_zero 0
	.end_amdhsa_kernel
	.section	.text._ZN9rocsparseL23check_matrix_csr_deviceILj256ELj128EfiiEEvT3_S1_T2_PKT1_PKS2_PKS1_S9_21rocsparse_index_base_22rocsparse_matrix_type_20rocsparse_fill_mode_23rocsparse_storage_mode_P22rocsparse_data_status_,"axG",@progbits,_ZN9rocsparseL23check_matrix_csr_deviceILj256ELj128EfiiEEvT3_S1_T2_PKT1_PKS2_PKS1_S9_21rocsparse_index_base_22rocsparse_matrix_type_20rocsparse_fill_mode_23rocsparse_storage_mode_P22rocsparse_data_status_,comdat
.Lfunc_end7:
	.size	_ZN9rocsparseL23check_matrix_csr_deviceILj256ELj128EfiiEEvT3_S1_T2_PKT1_PKS2_PKS1_S9_21rocsparse_index_base_22rocsparse_matrix_type_20rocsparse_fill_mode_23rocsparse_storage_mode_P22rocsparse_data_status_, .Lfunc_end7-_ZN9rocsparseL23check_matrix_csr_deviceILj256ELj128EfiiEEvT3_S1_T2_PKT1_PKS2_PKS1_S9_21rocsparse_index_base_22rocsparse_matrix_type_20rocsparse_fill_mode_23rocsparse_storage_mode_P22rocsparse_data_status_
                                        ; -- End function
	.set _ZN9rocsparseL23check_matrix_csr_deviceILj256ELj128EfiiEEvT3_S1_T2_PKT1_PKS2_PKS1_S9_21rocsparse_index_base_22rocsparse_matrix_type_20rocsparse_fill_mode_23rocsparse_storage_mode_P22rocsparse_data_status_.num_vgpr, 10
	.set _ZN9rocsparseL23check_matrix_csr_deviceILj256ELj128EfiiEEvT3_S1_T2_PKT1_PKS2_PKS1_S9_21rocsparse_index_base_22rocsparse_matrix_type_20rocsparse_fill_mode_23rocsparse_storage_mode_P22rocsparse_data_status_.num_agpr, 0
	.set _ZN9rocsparseL23check_matrix_csr_deviceILj256ELj128EfiiEEvT3_S1_T2_PKT1_PKS2_PKS1_S9_21rocsparse_index_base_22rocsparse_matrix_type_20rocsparse_fill_mode_23rocsparse_storage_mode_P22rocsparse_data_status_.numbered_sgpr, 29
	.set _ZN9rocsparseL23check_matrix_csr_deviceILj256ELj128EfiiEEvT3_S1_T2_PKT1_PKS2_PKS1_S9_21rocsparse_index_base_22rocsparse_matrix_type_20rocsparse_fill_mode_23rocsparse_storage_mode_P22rocsparse_data_status_.num_named_barrier, 0
	.set _ZN9rocsparseL23check_matrix_csr_deviceILj256ELj128EfiiEEvT3_S1_T2_PKT1_PKS2_PKS1_S9_21rocsparse_index_base_22rocsparse_matrix_type_20rocsparse_fill_mode_23rocsparse_storage_mode_P22rocsparse_data_status_.private_seg_size, 0
	.set _ZN9rocsparseL23check_matrix_csr_deviceILj256ELj128EfiiEEvT3_S1_T2_PKT1_PKS2_PKS1_S9_21rocsparse_index_base_22rocsparse_matrix_type_20rocsparse_fill_mode_23rocsparse_storage_mode_P22rocsparse_data_status_.uses_vcc, 1
	.set _ZN9rocsparseL23check_matrix_csr_deviceILj256ELj128EfiiEEvT3_S1_T2_PKT1_PKS2_PKS1_S9_21rocsparse_index_base_22rocsparse_matrix_type_20rocsparse_fill_mode_23rocsparse_storage_mode_P22rocsparse_data_status_.uses_flat_scratch, 0
	.set _ZN9rocsparseL23check_matrix_csr_deviceILj256ELj128EfiiEEvT3_S1_T2_PKT1_PKS2_PKS1_S9_21rocsparse_index_base_22rocsparse_matrix_type_20rocsparse_fill_mode_23rocsparse_storage_mode_P22rocsparse_data_status_.has_dyn_sized_stack, 0
	.set _ZN9rocsparseL23check_matrix_csr_deviceILj256ELj128EfiiEEvT3_S1_T2_PKT1_PKS2_PKS1_S9_21rocsparse_index_base_22rocsparse_matrix_type_20rocsparse_fill_mode_23rocsparse_storage_mode_P22rocsparse_data_status_.has_recursion, 0
	.set _ZN9rocsparseL23check_matrix_csr_deviceILj256ELj128EfiiEEvT3_S1_T2_PKT1_PKS2_PKS1_S9_21rocsparse_index_base_22rocsparse_matrix_type_20rocsparse_fill_mode_23rocsparse_storage_mode_P22rocsparse_data_status_.has_indirect_call, 0
	.section	.AMDGPU.csdata,"",@progbits
; Kernel info:
; codeLenInByte = 1004
; TotalNumSgprs: 31
; NumVgprs: 10
; ScratchSize: 0
; MemoryBound: 0
; FloatMode: 240
; IeeeMode: 1
; LDSByteSize: 0 bytes/workgroup (compile time only)
; SGPRBlocks: 0
; VGPRBlocks: 0
; NumSGPRsForWavesPerEU: 31
; NumVGPRsForWavesPerEU: 10
; NamedBarCnt: 0
; Occupancy: 16
; WaveLimiterHint : 0
; COMPUTE_PGM_RSRC2:SCRATCH_EN: 0
; COMPUTE_PGM_RSRC2:USER_SGPR: 2
; COMPUTE_PGM_RSRC2:TRAP_HANDLER: 0
; COMPUTE_PGM_RSRC2:TGID_X_EN: 1
; COMPUTE_PGM_RSRC2:TGID_Y_EN: 0
; COMPUTE_PGM_RSRC2:TGID_Z_EN: 0
; COMPUTE_PGM_RSRC2:TIDIG_COMP_CNT: 0
	.section	.text._ZN9rocsparseL23check_matrix_csr_deviceILj256ELj256EfiiEEvT3_S1_T2_PKT1_PKS2_PKS1_S9_21rocsparse_index_base_22rocsparse_matrix_type_20rocsparse_fill_mode_23rocsparse_storage_mode_P22rocsparse_data_status_,"axG",@progbits,_ZN9rocsparseL23check_matrix_csr_deviceILj256ELj256EfiiEEvT3_S1_T2_PKT1_PKS2_PKS1_S9_21rocsparse_index_base_22rocsparse_matrix_type_20rocsparse_fill_mode_23rocsparse_storage_mode_P22rocsparse_data_status_,comdat
	.globl	_ZN9rocsparseL23check_matrix_csr_deviceILj256ELj256EfiiEEvT3_S1_T2_PKT1_PKS2_PKS1_S9_21rocsparse_index_base_22rocsparse_matrix_type_20rocsparse_fill_mode_23rocsparse_storage_mode_P22rocsparse_data_status_ ; -- Begin function _ZN9rocsparseL23check_matrix_csr_deviceILj256ELj256EfiiEEvT3_S1_T2_PKT1_PKS2_PKS1_S9_21rocsparse_index_base_22rocsparse_matrix_type_20rocsparse_fill_mode_23rocsparse_storage_mode_P22rocsparse_data_status_
	.p2align	8
	.type	_ZN9rocsparseL23check_matrix_csr_deviceILj256ELj256EfiiEEvT3_S1_T2_PKT1_PKS2_PKS1_S9_21rocsparse_index_base_22rocsparse_matrix_type_20rocsparse_fill_mode_23rocsparse_storage_mode_P22rocsparse_data_status_,@function
_ZN9rocsparseL23check_matrix_csr_deviceILj256ELj256EfiiEEvT3_S1_T2_PKT1_PKS2_PKS1_S9_21rocsparse_index_base_22rocsparse_matrix_type_20rocsparse_fill_mode_23rocsparse_storage_mode_P22rocsparse_data_status_: ; @_ZN9rocsparseL23check_matrix_csr_deviceILj256ELj256EfiiEEvT3_S1_T2_PKT1_PKS2_PKS1_S9_21rocsparse_index_base_22rocsparse_matrix_type_20rocsparse_fill_mode_23rocsparse_storage_mode_P22rocsparse_data_status_
; %bb.0:
	s_load_b64 s[12:13], s[0:1], 0x0
	s_bfe_u32 s2, ttmp6, 0x4000c
	s_and_b32 s3, ttmp6, 15
	s_add_co_i32 s2, s2, 1
	s_getreg_b32 s4, hwreg(HW_REG_IB_STS2, 6, 4)
	s_mul_i32 s2, ttmp9, s2
	s_delay_alu instid0(SALU_CYCLE_1) | instskip(SKIP_2) | instid1(SALU_CYCLE_1)
	s_add_co_i32 s3, s3, s2
	s_cmp_eq_u32 s4, 0
	s_cselect_b32 s2, ttmp9, s3
	s_and_b32 s16, s2, 0xffffff
	s_wait_kmcnt 0x0
	s_cmp_lt_i32 s16, s12
	s_cselect_b32 s2, -1, 0
	s_delay_alu instid0(SALU_CYCLE_1)
	s_and_saveexec_b32 s3, s2
	s_cbranch_execz .LBB8_31
; %bb.1:
	s_load_b64 s[2:3], s[0:1], 0x18
	v_lshlrev_b32_e64 v1, 2, s16
	s_wait_kmcnt 0x0
	global_load_b64 v[4:5], v1, s[2:3]
	s_wait_xcnt 0x0
	s_load_b32 s2, s[2:3], 0x0
	s_wait_loadcnt 0x0
	s_wait_kmcnt 0x0
	v_subrev_nc_u32_e32 v2, s2, v5
	v_subrev_nc_u32_e32 v3, s2, v4
	v_cmp_lt_i32_e64 s2, v5, v4
	v_mov_b32_e32 v4, 3
	s_delay_alu instid0(VALU_DEP_4) | instskip(NEXT) | instid1(VALU_DEP_4)
	v_cmp_gt_i32_e32 vcc_lo, 0, v2
	v_cmp_lt_i32_e64 s3, -1, v3
	s_or_b32 s2, vcc_lo, s2
	s_delay_alu instid0(SALU_CYCLE_1) | instskip(SKIP_2) | instid1(SALU_CYCLE_1)
	s_xor_b32 s4, s2, -1
	s_mov_b32 s2, -1
	s_and_b32 s3, s3, s4
	s_and_saveexec_b32 s12, s3
	s_cbranch_execz .LBB8_29
; %bb.2:
	v_dual_add_nc_u32 v0, v3, v0 :: v_dual_mov_b32 v4, 3
	s_mov_b32 s2, 0
	s_mov_b32 s17, exec_lo
	s_delay_alu instid0(VALU_DEP_1)
	v_cmpx_lt_u32_e64 v0, v2
	s_cbranch_execz .LBB8_28
; %bb.3:
	s_clause 0x1
	s_load_b256 s[4:11], s[0:1], 0x20
	s_load_b64 s[14:15], s[0:1], 0x10
                                        ; implicit-def: $sgpr19
                                        ; implicit-def: $sgpr20
                                        ; implicit-def: $sgpr21
	s_wait_kmcnt 0x0
	s_cmp_lg_u32 s9, 0
	s_cselect_b32 s9, -1, 0
	s_cmp_lg_u32 s10, 0
	s_cselect_b32 s10, -1, 0
	s_cmp_lg_u32 s11, 0
	s_mov_b32 s11, 0
	s_cselect_b32 s18, -1, 0
	s_branch .LBB8_10
.LBB8_4:                                ;   in Loop: Header=BB8_10 Depth=1
	s_or_b32 exec_lo, exec_lo, s28
	s_delay_alu instid0(SALU_CYCLE_1)
	s_or_not1_b32 s29, s3, exec_lo
	s_or_not1_b32 s2, s26, exec_lo
.LBB8_5:                                ;   in Loop: Header=BB8_10 Depth=1
	s_or_b32 exec_lo, exec_lo, s27
	s_delay_alu instid0(SALU_CYCLE_1)
	s_or_not1_b32 s3, s29, exec_lo
	s_or_not1_b32 s2, s2, exec_lo
.LBB8_6:                                ;   in Loop: Header=BB8_10 Depth=1
	s_or_b32 exec_lo, exec_lo, s25
	s_delay_alu instid0(SALU_CYCLE_1)
	s_or_not1_b32 s3, s3, exec_lo
	s_or_not1_b32 s2, s2, exec_lo
.LBB8_7:                                ;   in Loop: Header=BB8_10 Depth=1
	s_or_b32 exec_lo, exec_lo, s24
	s_delay_alu instid0(SALU_CYCLE_1)
	s_or_not1_b32 s3, s3, exec_lo
	s_or_not1_b32 s2, s2, exec_lo
.LBB8_8:                                ;   in Loop: Header=BB8_10 Depth=1
	s_or_b32 exec_lo, exec_lo, s23
	s_delay_alu instid0(SALU_CYCLE_1)
	s_and_not1_b32 s21, s21, exec_lo
	s_and_b32 s3, s3, exec_lo
	s_and_not1_b32 s20, s20, exec_lo
	s_and_b32 s2, s2, exec_lo
	s_or_b32 s21, s21, s3
	s_or_b32 s20, s20, s2
.LBB8_9:                                ;   in Loop: Header=BB8_10 Depth=1
	s_or_b32 exec_lo, exec_lo, s22
	s_delay_alu instid0(SALU_CYCLE_1) | instskip(NEXT) | instid1(SALU_CYCLE_1)
	s_and_b32 s2, exec_lo, s20
	s_or_b32 s11, s2, s11
	s_and_not1_b32 s2, s19, exec_lo
	s_and_b32 s3, s21, exec_lo
	s_delay_alu instid0(SALU_CYCLE_1)
	s_or_b32 s19, s2, s3
	s_and_not1_b32 exec_lo, exec_lo, s11
	s_cbranch_execz .LBB8_27
.LBB8_10:                               ; =>This Inner Loop Header: Depth=1
	global_load_b32 v5, v0, s[4:5] scale_offset
	v_mov_b32_e32 v4, 4
	s_or_b32 s21, s21, exec_lo
	s_or_b32 s20, s20, exec_lo
	s_wait_loadcnt 0x0
	v_subrev_nc_u32_e32 v6, s8, v5
	s_delay_alu instid0(VALU_DEP_1) | instskip(SKIP_2) | instid1(SALU_CYCLE_1)
	v_cmp_lt_i32_e32 vcc_lo, -1, v6
	v_cmp_gt_i32_e64 s2, s13, v6
	s_and_b32 s2, vcc_lo, s2
	s_and_saveexec_b32 s22, s2
	s_cbranch_execz .LBB8_9
; %bb.11:                               ;   in Loop: Header=BB8_10 Depth=1
	v_cmp_le_i32_e64 s26, v0, v3
	v_dual_mov_b32 v4, 4 :: v_dual_ashrrev_i32 v1, 31, v0
	s_mov_b32 s23, exec_lo
	s_mov_b32 s24, s26
	v_cmpx_gt_i32_e64 v0, v3
	s_cbranch_execz .LBB8_13
; %bb.12:                               ;   in Loop: Header=BB8_10 Depth=1
	v_lshl_add_u64 v[8:9], v[0:1], 2, s[6:7]
	global_load_b64 v[8:9], v[8:9], off offset:-4
	s_wait_loadcnt 0x0
	v_subrev_nc_u32_e32 v4, s8, v8
	v_cmp_ne_u32_e64 s3, v9, v8
	s_delay_alu instid0(VALU_DEP_2) | instskip(SKIP_3) | instid1(SALU_CYCLE_1)
	v_cmp_lt_i32_e32 vcc_lo, -1, v4
	v_cmp_gt_i32_e64 s2, s13, v4
	v_mov_b32_e32 v4, 5
	s_and_b32 s2, vcc_lo, s2
	s_xor_b32 s2, s2, -1
	s_delay_alu instid0(SALU_CYCLE_1) | instskip(SKIP_2) | instid1(SALU_CYCLE_1)
	s_or_b32 s2, s3, s2
	s_and_not1_b32 s3, s26, exec_lo
	s_and_b32 s2, s2, exec_lo
	s_or_b32 s24, s3, s2
.LBB8_13:                               ;   in Loop: Header=BB8_10 Depth=1
	s_or_b32 exec_lo, exec_lo, s23
	s_mov_b32 s2, -1
	s_mov_b32 s3, -1
	s_and_saveexec_b32 s23, s24
	s_cbranch_execz .LBB8_8
; %bb.14:                               ;   in Loop: Header=BB8_10 Depth=1
	v_lshl_add_u64 v[8:9], v[0:1], 2, s[14:15]
	v_mov_b32_e32 v4, 1
	s_mov_b32 s24, exec_lo
	global_load_b32 v7, v[8:9], off
	s_wait_loadcnt 0x0
	v_cmpx_neq_f32_e32 0x7f800000, v7
	s_cbranch_execz .LBB8_7
; %bb.15:                               ;   in Loop: Header=BB8_10 Depth=1
	v_mov_b32_e32 v4, 2
	s_mov_b32 s25, exec_lo
	v_cmpx_o_f32_e32 v7, v7
	s_cbranch_execz .LBB8_6
; %bb.16:                               ;   in Loop: Header=BB8_10 Depth=1
	s_and_b32 vcc_lo, exec_lo, s9
	s_cbranch_vccz .LBB8_19
; %bb.17:                               ;   in Loop: Header=BB8_10 Depth=1
	s_and_b32 vcc_lo, exec_lo, s10
	s_cbranch_vccz .LBB8_20
; %bb.18:                               ;   in Loop: Header=BB8_10 Depth=1
	v_cmp_le_i32_e32 vcc_lo, s16, v6
	s_mov_b32 s3, 7
	s_and_b32 s28, vcc_lo, exec_lo
	s_cbranch_execz .LBB8_21
	s_branch .LBB8_22
.LBB8_19:                               ;   in Loop: Header=BB8_10 Depth=1
	s_mov_b32 s3, 2
	s_mov_b32 s28, -1
	s_branch .LBB8_22
.LBB8_20:                               ;   in Loop: Header=BB8_10 Depth=1
	s_mov_b32 s28, 0
	s_mov_b32 s3, 2
.LBB8_21:                               ;   in Loop: Header=BB8_10 Depth=1
	v_cmp_ge_i32_e32 vcc_lo, s16, v6
	s_and_not1_b32 s27, s28, exec_lo
	s_mov_b32 s3, 7
	s_and_b32 s28, vcc_lo, exec_lo
	s_delay_alu instid0(SALU_CYCLE_1)
	s_or_b32 s28, s27, s28
.LBB8_22:                               ;   in Loop: Header=BB8_10 Depth=1
	v_mov_b32_e32 v4, s3
	s_mov_b32 s29, -1
	s_and_saveexec_b32 s27, s28
	s_cbranch_execz .LBB8_5
; %bb.23:                               ;   in Loop: Header=BB8_10 Depth=1
	v_mov_b32_e32 v4, s3
	s_nor_b32 s3, s18, s26
	s_mov_b32 s26, -1
	s_and_saveexec_b32 s28, s3
	s_cbranch_execz .LBB8_25
; %bb.24:                               ;   in Loop: Header=BB8_10 Depth=1
	v_lshl_add_u64 v[6:7], v[0:1], 2, s[4:5]
	global_load_b32 v1, v[6:7], off offset:-4
	s_wait_loadcnt 0x0
	v_subrev_nc_u32_e32 v4, s8, v1
	v_cmp_gt_i32_e64 s3, v5, v1
	s_delay_alu instid0(VALU_DEP_2) | instskip(SKIP_3) | instid1(SALU_CYCLE_1)
	v_cmp_lt_i32_e32 vcc_lo, -1, v4
	v_cmp_gt_i32_e64 s2, s13, v4
	v_mov_b32_e32 v4, 6
	s_and_b32 s2, vcc_lo, s2
	s_xor_b32 s2, s2, -1
	s_delay_alu instid0(SALU_CYCLE_1) | instskip(NEXT) | instid1(SALU_CYCLE_1)
	s_or_b32 s2, s3, s2
	s_or_not1_b32 s2, s2, exec_lo
.LBB8_25:                               ;   in Loop: Header=BB8_10 Depth=1
	s_or_b32 exec_lo, exec_lo, s28
	s_mov_b32 s3, -1
	s_and_saveexec_b32 s28, s2
	s_cbranch_execz .LBB8_4
; %bb.26:                               ;   in Loop: Header=BB8_10 Depth=1
	v_add_nc_u32_e32 v0, 0x100, v0
	s_xor_b32 s3, exec_lo, -1
	s_delay_alu instid0(VALU_DEP_1)
	v_cmp_ge_i32_e32 vcc_lo, v0, v2
	s_or_not1_b32 s26, vcc_lo, exec_lo
	s_branch .LBB8_4
.LBB8_27:
	s_or_b32 exec_lo, exec_lo, s11
	s_delay_alu instid0(SALU_CYCLE_1)
	s_and_b32 s2, s19, exec_lo
.LBB8_28:
	s_or_b32 exec_lo, exec_lo, s17
	s_delay_alu instid0(SALU_CYCLE_1)
	s_or_not1_b32 s2, s2, exec_lo
.LBB8_29:
	s_or_b32 exec_lo, exec_lo, s12
	s_delay_alu instid0(SALU_CYCLE_1)
	s_and_b32 exec_lo, exec_lo, s2
	s_cbranch_execz .LBB8_31
; %bb.30:
	s_load_b64 s[0:1], s[0:1], 0x40
	v_mov_b32_e32 v0, 0
	s_wait_kmcnt 0x0
	global_store_b32 v0, v4, s[0:1]
.LBB8_31:
	s_endpgm
	.section	.rodata,"a",@progbits
	.p2align	6, 0x0
	.amdhsa_kernel _ZN9rocsparseL23check_matrix_csr_deviceILj256ELj256EfiiEEvT3_S1_T2_PKT1_PKS2_PKS1_S9_21rocsparse_index_base_22rocsparse_matrix_type_20rocsparse_fill_mode_23rocsparse_storage_mode_P22rocsparse_data_status_
		.amdhsa_group_segment_fixed_size 0
		.amdhsa_private_segment_fixed_size 0
		.amdhsa_kernarg_size 72
		.amdhsa_user_sgpr_count 2
		.amdhsa_user_sgpr_dispatch_ptr 0
		.amdhsa_user_sgpr_queue_ptr 0
		.amdhsa_user_sgpr_kernarg_segment_ptr 1
		.amdhsa_user_sgpr_dispatch_id 0
		.amdhsa_user_sgpr_kernarg_preload_length 0
		.amdhsa_user_sgpr_kernarg_preload_offset 0
		.amdhsa_user_sgpr_private_segment_size 0
		.amdhsa_wavefront_size32 1
		.amdhsa_uses_dynamic_stack 0
		.amdhsa_enable_private_segment 0
		.amdhsa_system_sgpr_workgroup_id_x 1
		.amdhsa_system_sgpr_workgroup_id_y 0
		.amdhsa_system_sgpr_workgroup_id_z 0
		.amdhsa_system_sgpr_workgroup_info 0
		.amdhsa_system_vgpr_workitem_id 0
		.amdhsa_next_free_vgpr 10
		.amdhsa_next_free_sgpr 30
		.amdhsa_named_barrier_count 0
		.amdhsa_reserve_vcc 1
		.amdhsa_float_round_mode_32 0
		.amdhsa_float_round_mode_16_64 0
		.amdhsa_float_denorm_mode_32 3
		.amdhsa_float_denorm_mode_16_64 3
		.amdhsa_fp16_overflow 0
		.amdhsa_memory_ordered 1
		.amdhsa_forward_progress 1
		.amdhsa_inst_pref_size 8
		.amdhsa_round_robin_scheduling 0
		.amdhsa_exception_fp_ieee_invalid_op 0
		.amdhsa_exception_fp_denorm_src 0
		.amdhsa_exception_fp_ieee_div_zero 0
		.amdhsa_exception_fp_ieee_overflow 0
		.amdhsa_exception_fp_ieee_underflow 0
		.amdhsa_exception_fp_ieee_inexact 0
		.amdhsa_exception_int_div_zero 0
	.end_amdhsa_kernel
	.section	.text._ZN9rocsparseL23check_matrix_csr_deviceILj256ELj256EfiiEEvT3_S1_T2_PKT1_PKS2_PKS1_S9_21rocsparse_index_base_22rocsparse_matrix_type_20rocsparse_fill_mode_23rocsparse_storage_mode_P22rocsparse_data_status_,"axG",@progbits,_ZN9rocsparseL23check_matrix_csr_deviceILj256ELj256EfiiEEvT3_S1_T2_PKT1_PKS2_PKS1_S9_21rocsparse_index_base_22rocsparse_matrix_type_20rocsparse_fill_mode_23rocsparse_storage_mode_P22rocsparse_data_status_,comdat
.Lfunc_end8:
	.size	_ZN9rocsparseL23check_matrix_csr_deviceILj256ELj256EfiiEEvT3_S1_T2_PKT1_PKS2_PKS1_S9_21rocsparse_index_base_22rocsparse_matrix_type_20rocsparse_fill_mode_23rocsparse_storage_mode_P22rocsparse_data_status_, .Lfunc_end8-_ZN9rocsparseL23check_matrix_csr_deviceILj256ELj256EfiiEEvT3_S1_T2_PKT1_PKS2_PKS1_S9_21rocsparse_index_base_22rocsparse_matrix_type_20rocsparse_fill_mode_23rocsparse_storage_mode_P22rocsparse_data_status_
                                        ; -- End function
	.set _ZN9rocsparseL23check_matrix_csr_deviceILj256ELj256EfiiEEvT3_S1_T2_PKT1_PKS2_PKS1_S9_21rocsparse_index_base_22rocsparse_matrix_type_20rocsparse_fill_mode_23rocsparse_storage_mode_P22rocsparse_data_status_.num_vgpr, 10
	.set _ZN9rocsparseL23check_matrix_csr_deviceILj256ELj256EfiiEEvT3_S1_T2_PKT1_PKS2_PKS1_S9_21rocsparse_index_base_22rocsparse_matrix_type_20rocsparse_fill_mode_23rocsparse_storage_mode_P22rocsparse_data_status_.num_agpr, 0
	.set _ZN9rocsparseL23check_matrix_csr_deviceILj256ELj256EfiiEEvT3_S1_T2_PKT1_PKS2_PKS1_S9_21rocsparse_index_base_22rocsparse_matrix_type_20rocsparse_fill_mode_23rocsparse_storage_mode_P22rocsparse_data_status_.numbered_sgpr, 30
	.set _ZN9rocsparseL23check_matrix_csr_deviceILj256ELj256EfiiEEvT3_S1_T2_PKT1_PKS2_PKS1_S9_21rocsparse_index_base_22rocsparse_matrix_type_20rocsparse_fill_mode_23rocsparse_storage_mode_P22rocsparse_data_status_.num_named_barrier, 0
	.set _ZN9rocsparseL23check_matrix_csr_deviceILj256ELj256EfiiEEvT3_S1_T2_PKT1_PKS2_PKS1_S9_21rocsparse_index_base_22rocsparse_matrix_type_20rocsparse_fill_mode_23rocsparse_storage_mode_P22rocsparse_data_status_.private_seg_size, 0
	.set _ZN9rocsparseL23check_matrix_csr_deviceILj256ELj256EfiiEEvT3_S1_T2_PKT1_PKS2_PKS1_S9_21rocsparse_index_base_22rocsparse_matrix_type_20rocsparse_fill_mode_23rocsparse_storage_mode_P22rocsparse_data_status_.uses_vcc, 1
	.set _ZN9rocsparseL23check_matrix_csr_deviceILj256ELj256EfiiEEvT3_S1_T2_PKT1_PKS2_PKS1_S9_21rocsparse_index_base_22rocsparse_matrix_type_20rocsparse_fill_mode_23rocsparse_storage_mode_P22rocsparse_data_status_.uses_flat_scratch, 0
	.set _ZN9rocsparseL23check_matrix_csr_deviceILj256ELj256EfiiEEvT3_S1_T2_PKT1_PKS2_PKS1_S9_21rocsparse_index_base_22rocsparse_matrix_type_20rocsparse_fill_mode_23rocsparse_storage_mode_P22rocsparse_data_status_.has_dyn_sized_stack, 0
	.set _ZN9rocsparseL23check_matrix_csr_deviceILj256ELj256EfiiEEvT3_S1_T2_PKT1_PKS2_PKS1_S9_21rocsparse_index_base_22rocsparse_matrix_type_20rocsparse_fill_mode_23rocsparse_storage_mode_P22rocsparse_data_status_.has_recursion, 0
	.set _ZN9rocsparseL23check_matrix_csr_deviceILj256ELj256EfiiEEvT3_S1_T2_PKT1_PKS2_PKS1_S9_21rocsparse_index_base_22rocsparse_matrix_type_20rocsparse_fill_mode_23rocsparse_storage_mode_P22rocsparse_data_status_.has_indirect_call, 0
	.section	.AMDGPU.csdata,"",@progbits
; Kernel info:
; codeLenInByte = 992
; TotalNumSgprs: 32
; NumVgprs: 10
; ScratchSize: 0
; MemoryBound: 0
; FloatMode: 240
; IeeeMode: 1
; LDSByteSize: 0 bytes/workgroup (compile time only)
; SGPRBlocks: 0
; VGPRBlocks: 0
; NumSGPRsForWavesPerEU: 32
; NumVGPRsForWavesPerEU: 10
; NamedBarCnt: 0
; Occupancy: 16
; WaveLimiterHint : 0
; COMPUTE_PGM_RSRC2:SCRATCH_EN: 0
; COMPUTE_PGM_RSRC2:USER_SGPR: 2
; COMPUTE_PGM_RSRC2:TRAP_HANDLER: 0
; COMPUTE_PGM_RSRC2:TGID_X_EN: 1
; COMPUTE_PGM_RSRC2:TGID_Y_EN: 0
; COMPUTE_PGM_RSRC2:TGID_Z_EN: 0
; COMPUTE_PGM_RSRC2:TIDIG_COMP_CNT: 0
	.section	.text._ZN9rocsparseL23check_matrix_csr_deviceILj256ELj4EdiiEEvT3_S1_T2_PKT1_PKS2_PKS1_S9_21rocsparse_index_base_22rocsparse_matrix_type_20rocsparse_fill_mode_23rocsparse_storage_mode_P22rocsparse_data_status_,"axG",@progbits,_ZN9rocsparseL23check_matrix_csr_deviceILj256ELj4EdiiEEvT3_S1_T2_PKT1_PKS2_PKS1_S9_21rocsparse_index_base_22rocsparse_matrix_type_20rocsparse_fill_mode_23rocsparse_storage_mode_P22rocsparse_data_status_,comdat
	.globl	_ZN9rocsparseL23check_matrix_csr_deviceILj256ELj4EdiiEEvT3_S1_T2_PKT1_PKS2_PKS1_S9_21rocsparse_index_base_22rocsparse_matrix_type_20rocsparse_fill_mode_23rocsparse_storage_mode_P22rocsparse_data_status_ ; -- Begin function _ZN9rocsparseL23check_matrix_csr_deviceILj256ELj4EdiiEEvT3_S1_T2_PKT1_PKS2_PKS1_S9_21rocsparse_index_base_22rocsparse_matrix_type_20rocsparse_fill_mode_23rocsparse_storage_mode_P22rocsparse_data_status_
	.p2align	8
	.type	_ZN9rocsparseL23check_matrix_csr_deviceILj256ELj4EdiiEEvT3_S1_T2_PKT1_PKS2_PKS1_S9_21rocsparse_index_base_22rocsparse_matrix_type_20rocsparse_fill_mode_23rocsparse_storage_mode_P22rocsparse_data_status_,@function
_ZN9rocsparseL23check_matrix_csr_deviceILj256ELj4EdiiEEvT3_S1_T2_PKT1_PKS2_PKS1_S9_21rocsparse_index_base_22rocsparse_matrix_type_20rocsparse_fill_mode_23rocsparse_storage_mode_P22rocsparse_data_status_: ; @_ZN9rocsparseL23check_matrix_csr_deviceILj256ELj4EdiiEEvT3_S1_T2_PKT1_PKS2_PKS1_S9_21rocsparse_index_base_22rocsparse_matrix_type_20rocsparse_fill_mode_23rocsparse_storage_mode_P22rocsparse_data_status_
; %bb.0:
	s_bfe_u32 s2, ttmp6, 0x4000c
	s_load_b64 s[12:13], s[0:1], 0x0
	s_add_co_i32 s2, s2, 1
	s_and_b32 s3, ttmp6, 15
	s_mul_i32 s2, ttmp9, s2
	s_getreg_b32 s4, hwreg(HW_REG_IB_STS2, 6, 4)
	s_add_co_i32 s3, s3, s2
	s_cmp_eq_u32 s4, 0
	s_cselect_b32 s2, ttmp9, s3
	s_delay_alu instid0(SALU_CYCLE_1) | instskip(SKIP_1) | instid1(VALU_DEP_1)
	v_lshl_or_b32 v1, s2, 8, v0
	s_mov_b32 s2, exec_lo
	v_lshrrev_b32_e32 v4, 2, v1
	s_wait_kmcnt 0x0
	s_delay_alu instid0(VALU_DEP_1)
	v_cmpx_gt_i32_e64 s12, v4
	s_cbranch_execz .LBB9_31
; %bb.1:
	s_load_b64 s[2:3], s[0:1], 0x18
	v_dual_lshlrev_b32 v1, 2, v4 :: v_dual_mov_b32 v7, 3
	s_wait_kmcnt 0x0
	global_load_b64 v[2:3], v1, s[2:3]
	s_wait_xcnt 0x0
	s_load_b32 s2, s[2:3], 0x0
	s_wait_loadcnt 0x0
	s_wait_kmcnt 0x0
	v_subrev_nc_u32_e32 v5, s2, v3
	v_subrev_nc_u32_e32 v6, s2, v2
	v_cmp_lt_i32_e64 s2, v3, v2
	s_delay_alu instid0(VALU_DEP_3) | instskip(NEXT) | instid1(VALU_DEP_3)
	v_cmp_gt_i32_e32 vcc_lo, 0, v5
	v_cmp_lt_i32_e64 s3, -1, v6
	s_or_b32 s2, vcc_lo, s2
	s_delay_alu instid0(SALU_CYCLE_1) | instskip(SKIP_2) | instid1(SALU_CYCLE_1)
	s_xor_b32 s4, s2, -1
	s_mov_b32 s2, -1
	s_and_b32 s3, s3, s4
	s_and_saveexec_b32 s12, s3
	s_cbranch_execz .LBB9_29
; %bb.2:
	v_dual_mov_b32 v7, 3 :: v_dual_bitop2_b32 v0, 3, v0 bitop3:0x40
	s_mov_b32 s2, 0
	s_mov_b32 s16, exec_lo
	s_delay_alu instid0(VALU_DEP_1) | instskip(NEXT) | instid1(VALU_DEP_1)
	v_add_nc_u32_e32 v0, v6, v0
	v_cmpx_lt_u32_e64 v0, v5
	s_cbranch_execz .LBB9_28
; %bb.3:
	s_clause 0x1
	s_load_b256 s[4:11], s[0:1], 0x20
	s_load_b64 s[14:15], s[0:1], 0x10
                                        ; implicit-def: $sgpr18
                                        ; implicit-def: $sgpr19
                                        ; implicit-def: $sgpr20
	s_wait_kmcnt 0x0
	s_cmp_lg_u32 s9, 0
	s_cselect_b32 s9, -1, 0
	s_cmp_lg_u32 s10, 0
	s_cselect_b32 s10, -1, 0
	s_cmp_lg_u32 s11, 0
	s_mov_b32 s11, 0
	s_cselect_b32 s17, -1, 0
	s_branch .LBB9_10
.LBB9_4:                                ;   in Loop: Header=BB9_10 Depth=1
	s_or_b32 exec_lo, exec_lo, s27
	s_delay_alu instid0(SALU_CYCLE_1)
	s_or_not1_b32 s28, s3, exec_lo
	s_or_not1_b32 s2, s25, exec_lo
.LBB9_5:                                ;   in Loop: Header=BB9_10 Depth=1
	s_or_b32 exec_lo, exec_lo, s26
	s_delay_alu instid0(SALU_CYCLE_1)
	s_or_not1_b32 s3, s28, exec_lo
	s_or_not1_b32 s2, s2, exec_lo
.LBB9_6:                                ;   in Loop: Header=BB9_10 Depth=1
	s_or_b32 exec_lo, exec_lo, s24
	s_delay_alu instid0(SALU_CYCLE_1)
	s_or_not1_b32 s3, s3, exec_lo
	s_or_not1_b32 s2, s2, exec_lo
.LBB9_7:                                ;   in Loop: Header=BB9_10 Depth=1
	s_or_b32 exec_lo, exec_lo, s23
	s_delay_alu instid0(SALU_CYCLE_1)
	s_or_not1_b32 s3, s3, exec_lo
	s_or_not1_b32 s2, s2, exec_lo
.LBB9_8:                                ;   in Loop: Header=BB9_10 Depth=1
	s_or_b32 exec_lo, exec_lo, s22
	s_delay_alu instid0(SALU_CYCLE_1)
	s_and_not1_b32 s20, s20, exec_lo
	s_and_b32 s3, s3, exec_lo
	s_and_not1_b32 s19, s19, exec_lo
	s_and_b32 s2, s2, exec_lo
	s_or_b32 s20, s20, s3
	s_or_b32 s19, s19, s2
.LBB9_9:                                ;   in Loop: Header=BB9_10 Depth=1
	s_or_b32 exec_lo, exec_lo, s21
	s_delay_alu instid0(SALU_CYCLE_1) | instskip(NEXT) | instid1(SALU_CYCLE_1)
	s_and_b32 s2, exec_lo, s19
	s_or_b32 s11, s2, s11
	s_and_not1_b32 s2, s18, exec_lo
	s_and_b32 s3, s20, exec_lo
	s_delay_alu instid0(SALU_CYCLE_1)
	s_or_b32 s18, s2, s3
	s_and_not1_b32 exec_lo, exec_lo, s11
	s_cbranch_execz .LBB9_27
.LBB9_10:                               ; =>This Inner Loop Header: Depth=1
	global_load_b32 v8, v0, s[4:5] scale_offset
	v_mov_b32_e32 v7, 4
	s_or_b32 s20, s20, exec_lo
	s_or_b32 s19, s19, exec_lo
	s_wait_loadcnt 0x0
	v_subrev_nc_u32_e32 v9, s8, v8
	s_delay_alu instid0(VALU_DEP_1) | instskip(SKIP_2) | instid1(SALU_CYCLE_1)
	v_cmp_lt_i32_e32 vcc_lo, -1, v9
	v_cmp_gt_i32_e64 s2, s13, v9
	s_and_b32 s2, vcc_lo, s2
	s_and_saveexec_b32 s21, s2
	s_cbranch_execz .LBB9_9
; %bb.11:                               ;   in Loop: Header=BB9_10 Depth=1
	v_cmp_le_i32_e64 s25, v0, v6
	v_dual_ashrrev_i32 v1, 31, v0 :: v_dual_mov_b32 v7, 4
	s_mov_b32 s22, exec_lo
	s_mov_b32 s23, s25
	v_cmpx_gt_i32_e64 v0, v6
	s_cbranch_execz .LBB9_13
; %bb.12:                               ;   in Loop: Header=BB9_10 Depth=1
	v_lshl_add_u64 v[2:3], v[0:1], 2, s[6:7]
	global_load_b64 v[2:3], v[2:3], off offset:-4
	s_wait_loadcnt 0x0
	v_subrev_nc_u32_e32 v7, s8, v2
	v_cmp_ne_u32_e64 s3, v3, v2
	s_delay_alu instid0(VALU_DEP_2) | instskip(SKIP_3) | instid1(SALU_CYCLE_1)
	v_cmp_lt_i32_e32 vcc_lo, -1, v7
	v_cmp_gt_i32_e64 s2, s13, v7
	v_mov_b32_e32 v7, 5
	s_and_b32 s2, vcc_lo, s2
	s_xor_b32 s2, s2, -1
	s_delay_alu instid0(SALU_CYCLE_1) | instskip(SKIP_2) | instid1(SALU_CYCLE_1)
	s_or_b32 s2, s3, s2
	s_and_not1_b32 s3, s25, exec_lo
	s_and_b32 s2, s2, exec_lo
	s_or_b32 s23, s3, s2
.LBB9_13:                               ;   in Loop: Header=BB9_10 Depth=1
	s_or_b32 exec_lo, exec_lo, s22
	s_mov_b32 s2, -1
	s_mov_b32 s3, -1
	s_and_saveexec_b32 s22, s23
	s_cbranch_execz .LBB9_8
; %bb.14:                               ;   in Loop: Header=BB9_10 Depth=1
	v_lshl_add_u64 v[2:3], v[0:1], 3, s[14:15]
	v_mov_b32_e32 v7, 1
	s_mov_b32 s23, exec_lo
	global_load_b64 v[2:3], v[2:3], off
	s_wait_loadcnt 0x0
	v_cmpx_neq_f64_e32 0x7ff00000, v[2:3]
	s_cbranch_execz .LBB9_7
; %bb.15:                               ;   in Loop: Header=BB9_10 Depth=1
	v_mov_b32_e32 v7, 2
	s_mov_b32 s24, exec_lo
	v_cmpx_o_f64_e32 v[2:3], v[2:3]
	s_cbranch_execz .LBB9_6
; %bb.16:                               ;   in Loop: Header=BB9_10 Depth=1
	s_and_b32 vcc_lo, exec_lo, s9
	s_cbranch_vccz .LBB9_19
; %bb.17:                               ;   in Loop: Header=BB9_10 Depth=1
	s_and_b32 vcc_lo, exec_lo, s10
	s_cbranch_vccz .LBB9_20
; %bb.18:                               ;   in Loop: Header=BB9_10 Depth=1
	v_cmp_le_i32_e32 vcc_lo, v4, v9
	s_mov_b32 s3, 7
	s_and_b32 s27, vcc_lo, exec_lo
	s_cbranch_execz .LBB9_21
	s_branch .LBB9_22
.LBB9_19:                               ;   in Loop: Header=BB9_10 Depth=1
	s_mov_b32 s3, 2
	s_mov_b32 s27, -1
	s_branch .LBB9_22
.LBB9_20:                               ;   in Loop: Header=BB9_10 Depth=1
	s_mov_b32 s27, 0
	s_mov_b32 s3, 2
.LBB9_21:                               ;   in Loop: Header=BB9_10 Depth=1
	v_cmp_ge_i32_e32 vcc_lo, v4, v9
	s_and_not1_b32 s26, s27, exec_lo
	s_mov_b32 s3, 7
	s_and_b32 s27, vcc_lo, exec_lo
	s_delay_alu instid0(SALU_CYCLE_1)
	s_or_b32 s27, s26, s27
.LBB9_22:                               ;   in Loop: Header=BB9_10 Depth=1
	v_mov_b32_e32 v7, s3
	s_mov_b32 s28, -1
	s_and_saveexec_b32 s26, s27
	s_cbranch_execz .LBB9_5
; %bb.23:                               ;   in Loop: Header=BB9_10 Depth=1
	v_mov_b32_e32 v7, s3
	s_nor_b32 s3, s17, s25
	s_mov_b32 s25, -1
	s_and_saveexec_b32 s27, s3
	s_cbranch_execz .LBB9_25
; %bb.24:                               ;   in Loop: Header=BB9_10 Depth=1
	v_lshl_add_u64 v[2:3], v[0:1], 2, s[4:5]
	v_mov_b32_e32 v7, 6
	global_load_b32 v1, v[2:3], off offset:-4
	s_wait_loadcnt 0x0
	v_subrev_nc_u32_e32 v2, s8, v1
	v_cmp_gt_i32_e64 s3, v8, v1
	s_delay_alu instid0(VALU_DEP_2) | instskip(SKIP_2) | instid1(SALU_CYCLE_1)
	v_cmp_lt_i32_e32 vcc_lo, -1, v2
	v_cmp_gt_i32_e64 s2, s13, v2
	s_and_b32 s2, vcc_lo, s2
	s_xor_b32 s2, s2, -1
	s_delay_alu instid0(SALU_CYCLE_1) | instskip(NEXT) | instid1(SALU_CYCLE_1)
	s_or_b32 s2, s3, s2
	s_or_not1_b32 s2, s2, exec_lo
.LBB9_25:                               ;   in Loop: Header=BB9_10 Depth=1
	s_or_b32 exec_lo, exec_lo, s27
	s_mov_b32 s3, -1
	s_and_saveexec_b32 s27, s2
	s_cbranch_execz .LBB9_4
; %bb.26:                               ;   in Loop: Header=BB9_10 Depth=1
	v_add_nc_u32_e32 v0, 4, v0
	s_xor_b32 s3, exec_lo, -1
	s_delay_alu instid0(VALU_DEP_1)
	v_cmp_ge_i32_e32 vcc_lo, v0, v5
	s_or_not1_b32 s25, vcc_lo, exec_lo
	s_branch .LBB9_4
.LBB9_27:
	s_or_b32 exec_lo, exec_lo, s11
	s_delay_alu instid0(SALU_CYCLE_1)
	s_and_b32 s2, s18, exec_lo
.LBB9_28:
	s_or_b32 exec_lo, exec_lo, s16
	s_delay_alu instid0(SALU_CYCLE_1)
	s_or_not1_b32 s2, s2, exec_lo
.LBB9_29:
	s_or_b32 exec_lo, exec_lo, s12
	s_delay_alu instid0(SALU_CYCLE_1)
	s_and_b32 exec_lo, exec_lo, s2
	s_cbranch_execz .LBB9_31
; %bb.30:
	s_load_b64 s[0:1], s[0:1], 0x40
	v_mov_b32_e32 v0, 0
	s_wait_kmcnt 0x0
	global_store_b32 v0, v7, s[0:1]
.LBB9_31:
	s_endpgm
	.section	.rodata,"a",@progbits
	.p2align	6, 0x0
	.amdhsa_kernel _ZN9rocsparseL23check_matrix_csr_deviceILj256ELj4EdiiEEvT3_S1_T2_PKT1_PKS2_PKS1_S9_21rocsparse_index_base_22rocsparse_matrix_type_20rocsparse_fill_mode_23rocsparse_storage_mode_P22rocsparse_data_status_
		.amdhsa_group_segment_fixed_size 0
		.amdhsa_private_segment_fixed_size 0
		.amdhsa_kernarg_size 72
		.amdhsa_user_sgpr_count 2
		.amdhsa_user_sgpr_dispatch_ptr 0
		.amdhsa_user_sgpr_queue_ptr 0
		.amdhsa_user_sgpr_kernarg_segment_ptr 1
		.amdhsa_user_sgpr_dispatch_id 0
		.amdhsa_user_sgpr_kernarg_preload_length 0
		.amdhsa_user_sgpr_kernarg_preload_offset 0
		.amdhsa_user_sgpr_private_segment_size 0
		.amdhsa_wavefront_size32 1
		.amdhsa_uses_dynamic_stack 0
		.amdhsa_enable_private_segment 0
		.amdhsa_system_sgpr_workgroup_id_x 1
		.amdhsa_system_sgpr_workgroup_id_y 0
		.amdhsa_system_sgpr_workgroup_id_z 0
		.amdhsa_system_sgpr_workgroup_info 0
		.amdhsa_system_vgpr_workitem_id 0
		.amdhsa_next_free_vgpr 10
		.amdhsa_next_free_sgpr 29
		.amdhsa_named_barrier_count 0
		.amdhsa_reserve_vcc 1
		.amdhsa_float_round_mode_32 0
		.amdhsa_float_round_mode_16_64 0
		.amdhsa_float_denorm_mode_32 3
		.amdhsa_float_denorm_mode_16_64 3
		.amdhsa_fp16_overflow 0
		.amdhsa_memory_ordered 1
		.amdhsa_forward_progress 1
		.amdhsa_inst_pref_size 8
		.amdhsa_round_robin_scheduling 0
		.amdhsa_exception_fp_ieee_invalid_op 0
		.amdhsa_exception_fp_denorm_src 0
		.amdhsa_exception_fp_ieee_div_zero 0
		.amdhsa_exception_fp_ieee_overflow 0
		.amdhsa_exception_fp_ieee_underflow 0
		.amdhsa_exception_fp_ieee_inexact 0
		.amdhsa_exception_int_div_zero 0
	.end_amdhsa_kernel
	.section	.text._ZN9rocsparseL23check_matrix_csr_deviceILj256ELj4EdiiEEvT3_S1_T2_PKT1_PKS2_PKS1_S9_21rocsparse_index_base_22rocsparse_matrix_type_20rocsparse_fill_mode_23rocsparse_storage_mode_P22rocsparse_data_status_,"axG",@progbits,_ZN9rocsparseL23check_matrix_csr_deviceILj256ELj4EdiiEEvT3_S1_T2_PKT1_PKS2_PKS1_S9_21rocsparse_index_base_22rocsparse_matrix_type_20rocsparse_fill_mode_23rocsparse_storage_mode_P22rocsparse_data_status_,comdat
.Lfunc_end9:
	.size	_ZN9rocsparseL23check_matrix_csr_deviceILj256ELj4EdiiEEvT3_S1_T2_PKT1_PKS2_PKS1_S9_21rocsparse_index_base_22rocsparse_matrix_type_20rocsparse_fill_mode_23rocsparse_storage_mode_P22rocsparse_data_status_, .Lfunc_end9-_ZN9rocsparseL23check_matrix_csr_deviceILj256ELj4EdiiEEvT3_S1_T2_PKT1_PKS2_PKS1_S9_21rocsparse_index_base_22rocsparse_matrix_type_20rocsparse_fill_mode_23rocsparse_storage_mode_P22rocsparse_data_status_
                                        ; -- End function
	.set _ZN9rocsparseL23check_matrix_csr_deviceILj256ELj4EdiiEEvT3_S1_T2_PKT1_PKS2_PKS1_S9_21rocsparse_index_base_22rocsparse_matrix_type_20rocsparse_fill_mode_23rocsparse_storage_mode_P22rocsparse_data_status_.num_vgpr, 10
	.set _ZN9rocsparseL23check_matrix_csr_deviceILj256ELj4EdiiEEvT3_S1_T2_PKT1_PKS2_PKS1_S9_21rocsparse_index_base_22rocsparse_matrix_type_20rocsparse_fill_mode_23rocsparse_storage_mode_P22rocsparse_data_status_.num_agpr, 0
	.set _ZN9rocsparseL23check_matrix_csr_deviceILj256ELj4EdiiEEvT3_S1_T2_PKT1_PKS2_PKS1_S9_21rocsparse_index_base_22rocsparse_matrix_type_20rocsparse_fill_mode_23rocsparse_storage_mode_P22rocsparse_data_status_.numbered_sgpr, 29
	.set _ZN9rocsparseL23check_matrix_csr_deviceILj256ELj4EdiiEEvT3_S1_T2_PKT1_PKS2_PKS1_S9_21rocsparse_index_base_22rocsparse_matrix_type_20rocsparse_fill_mode_23rocsparse_storage_mode_P22rocsparse_data_status_.num_named_barrier, 0
	.set _ZN9rocsparseL23check_matrix_csr_deviceILj256ELj4EdiiEEvT3_S1_T2_PKT1_PKS2_PKS1_S9_21rocsparse_index_base_22rocsparse_matrix_type_20rocsparse_fill_mode_23rocsparse_storage_mode_P22rocsparse_data_status_.private_seg_size, 0
	.set _ZN9rocsparseL23check_matrix_csr_deviceILj256ELj4EdiiEEvT3_S1_T2_PKT1_PKS2_PKS1_S9_21rocsparse_index_base_22rocsparse_matrix_type_20rocsparse_fill_mode_23rocsparse_storage_mode_P22rocsparse_data_status_.uses_vcc, 1
	.set _ZN9rocsparseL23check_matrix_csr_deviceILj256ELj4EdiiEEvT3_S1_T2_PKT1_PKS2_PKS1_S9_21rocsparse_index_base_22rocsparse_matrix_type_20rocsparse_fill_mode_23rocsparse_storage_mode_P22rocsparse_data_status_.uses_flat_scratch, 0
	.set _ZN9rocsparseL23check_matrix_csr_deviceILj256ELj4EdiiEEvT3_S1_T2_PKT1_PKS2_PKS1_S9_21rocsparse_index_base_22rocsparse_matrix_type_20rocsparse_fill_mode_23rocsparse_storage_mode_P22rocsparse_data_status_.has_dyn_sized_stack, 0
	.set _ZN9rocsparseL23check_matrix_csr_deviceILj256ELj4EdiiEEvT3_S1_T2_PKT1_PKS2_PKS1_S9_21rocsparse_index_base_22rocsparse_matrix_type_20rocsparse_fill_mode_23rocsparse_storage_mode_P22rocsparse_data_status_.has_recursion, 0
	.set _ZN9rocsparseL23check_matrix_csr_deviceILj256ELj4EdiiEEvT3_S1_T2_PKT1_PKS2_PKS1_S9_21rocsparse_index_base_22rocsparse_matrix_type_20rocsparse_fill_mode_23rocsparse_storage_mode_P22rocsparse_data_status_.has_indirect_call, 0
	.section	.AMDGPU.csdata,"",@progbits
; Kernel info:
; codeLenInByte = 1000
; TotalNumSgprs: 31
; NumVgprs: 10
; ScratchSize: 0
; MemoryBound: 0
; FloatMode: 240
; IeeeMode: 1
; LDSByteSize: 0 bytes/workgroup (compile time only)
; SGPRBlocks: 0
; VGPRBlocks: 0
; NumSGPRsForWavesPerEU: 31
; NumVGPRsForWavesPerEU: 10
; NamedBarCnt: 0
; Occupancy: 16
; WaveLimiterHint : 0
; COMPUTE_PGM_RSRC2:SCRATCH_EN: 0
; COMPUTE_PGM_RSRC2:USER_SGPR: 2
; COMPUTE_PGM_RSRC2:TRAP_HANDLER: 0
; COMPUTE_PGM_RSRC2:TGID_X_EN: 1
; COMPUTE_PGM_RSRC2:TGID_Y_EN: 0
; COMPUTE_PGM_RSRC2:TGID_Z_EN: 0
; COMPUTE_PGM_RSRC2:TIDIG_COMP_CNT: 0
	.section	.text._ZN9rocsparseL23check_matrix_csr_deviceILj256ELj8EdiiEEvT3_S1_T2_PKT1_PKS2_PKS1_S9_21rocsparse_index_base_22rocsparse_matrix_type_20rocsparse_fill_mode_23rocsparse_storage_mode_P22rocsparse_data_status_,"axG",@progbits,_ZN9rocsparseL23check_matrix_csr_deviceILj256ELj8EdiiEEvT3_S1_T2_PKT1_PKS2_PKS1_S9_21rocsparse_index_base_22rocsparse_matrix_type_20rocsparse_fill_mode_23rocsparse_storage_mode_P22rocsparse_data_status_,comdat
	.globl	_ZN9rocsparseL23check_matrix_csr_deviceILj256ELj8EdiiEEvT3_S1_T2_PKT1_PKS2_PKS1_S9_21rocsparse_index_base_22rocsparse_matrix_type_20rocsparse_fill_mode_23rocsparse_storage_mode_P22rocsparse_data_status_ ; -- Begin function _ZN9rocsparseL23check_matrix_csr_deviceILj256ELj8EdiiEEvT3_S1_T2_PKT1_PKS2_PKS1_S9_21rocsparse_index_base_22rocsparse_matrix_type_20rocsparse_fill_mode_23rocsparse_storage_mode_P22rocsparse_data_status_
	.p2align	8
	.type	_ZN9rocsparseL23check_matrix_csr_deviceILj256ELj8EdiiEEvT3_S1_T2_PKT1_PKS2_PKS1_S9_21rocsparse_index_base_22rocsparse_matrix_type_20rocsparse_fill_mode_23rocsparse_storage_mode_P22rocsparse_data_status_,@function
_ZN9rocsparseL23check_matrix_csr_deviceILj256ELj8EdiiEEvT3_S1_T2_PKT1_PKS2_PKS1_S9_21rocsparse_index_base_22rocsparse_matrix_type_20rocsparse_fill_mode_23rocsparse_storage_mode_P22rocsparse_data_status_: ; @_ZN9rocsparseL23check_matrix_csr_deviceILj256ELj8EdiiEEvT3_S1_T2_PKT1_PKS2_PKS1_S9_21rocsparse_index_base_22rocsparse_matrix_type_20rocsparse_fill_mode_23rocsparse_storage_mode_P22rocsparse_data_status_
; %bb.0:
	s_bfe_u32 s2, ttmp6, 0x4000c
	s_load_b64 s[12:13], s[0:1], 0x0
	s_add_co_i32 s2, s2, 1
	s_and_b32 s3, ttmp6, 15
	s_mul_i32 s2, ttmp9, s2
	s_getreg_b32 s4, hwreg(HW_REG_IB_STS2, 6, 4)
	s_add_co_i32 s3, s3, s2
	s_cmp_eq_u32 s4, 0
	s_cselect_b32 s2, ttmp9, s3
	s_delay_alu instid0(SALU_CYCLE_1) | instskip(SKIP_1) | instid1(VALU_DEP_1)
	v_lshl_or_b32 v1, s2, 8, v0
	s_mov_b32 s2, exec_lo
	v_lshrrev_b32_e32 v4, 3, v1
	s_wait_kmcnt 0x0
	s_delay_alu instid0(VALU_DEP_1)
	v_cmpx_gt_i32_e64 s12, v4
	s_cbranch_execz .LBB10_31
; %bb.1:
	s_load_b64 s[2:3], s[0:1], 0x18
	v_dual_lshlrev_b32 v1, 2, v4 :: v_dual_mov_b32 v7, 3
	s_wait_kmcnt 0x0
	global_load_b64 v[2:3], v1, s[2:3]
	s_wait_xcnt 0x0
	s_load_b32 s2, s[2:3], 0x0
	s_wait_loadcnt 0x0
	s_wait_kmcnt 0x0
	v_subrev_nc_u32_e32 v5, s2, v3
	v_subrev_nc_u32_e32 v6, s2, v2
	v_cmp_lt_i32_e64 s2, v3, v2
	s_delay_alu instid0(VALU_DEP_3) | instskip(NEXT) | instid1(VALU_DEP_3)
	v_cmp_gt_i32_e32 vcc_lo, 0, v5
	v_cmp_lt_i32_e64 s3, -1, v6
	s_or_b32 s2, vcc_lo, s2
	s_delay_alu instid0(SALU_CYCLE_1) | instskip(SKIP_2) | instid1(SALU_CYCLE_1)
	s_xor_b32 s4, s2, -1
	s_mov_b32 s2, -1
	s_and_b32 s3, s3, s4
	s_and_saveexec_b32 s12, s3
	s_cbranch_execz .LBB10_29
; %bb.2:
	v_dual_mov_b32 v7, 3 :: v_dual_bitop2_b32 v0, 7, v0 bitop3:0x40
	s_mov_b32 s2, 0
	s_mov_b32 s16, exec_lo
	s_delay_alu instid0(VALU_DEP_1) | instskip(NEXT) | instid1(VALU_DEP_1)
	v_add_nc_u32_e32 v0, v6, v0
	v_cmpx_lt_u32_e64 v0, v5
	s_cbranch_execz .LBB10_28
; %bb.3:
	s_clause 0x1
	s_load_b256 s[4:11], s[0:1], 0x20
	s_load_b64 s[14:15], s[0:1], 0x10
                                        ; implicit-def: $sgpr18
                                        ; implicit-def: $sgpr19
                                        ; implicit-def: $sgpr20
	s_wait_kmcnt 0x0
	s_cmp_lg_u32 s9, 0
	s_cselect_b32 s9, -1, 0
	s_cmp_lg_u32 s10, 0
	s_cselect_b32 s10, -1, 0
	s_cmp_lg_u32 s11, 0
	s_mov_b32 s11, 0
	s_cselect_b32 s17, -1, 0
	s_branch .LBB10_10
.LBB10_4:                               ;   in Loop: Header=BB10_10 Depth=1
	s_or_b32 exec_lo, exec_lo, s27
	s_delay_alu instid0(SALU_CYCLE_1)
	s_or_not1_b32 s28, s3, exec_lo
	s_or_not1_b32 s2, s25, exec_lo
.LBB10_5:                               ;   in Loop: Header=BB10_10 Depth=1
	s_or_b32 exec_lo, exec_lo, s26
	s_delay_alu instid0(SALU_CYCLE_1)
	s_or_not1_b32 s3, s28, exec_lo
	s_or_not1_b32 s2, s2, exec_lo
.LBB10_6:                               ;   in Loop: Header=BB10_10 Depth=1
	s_or_b32 exec_lo, exec_lo, s24
	s_delay_alu instid0(SALU_CYCLE_1)
	s_or_not1_b32 s3, s3, exec_lo
	s_or_not1_b32 s2, s2, exec_lo
.LBB10_7:                               ;   in Loop: Header=BB10_10 Depth=1
	s_or_b32 exec_lo, exec_lo, s23
	s_delay_alu instid0(SALU_CYCLE_1)
	s_or_not1_b32 s3, s3, exec_lo
	s_or_not1_b32 s2, s2, exec_lo
.LBB10_8:                               ;   in Loop: Header=BB10_10 Depth=1
	s_or_b32 exec_lo, exec_lo, s22
	s_delay_alu instid0(SALU_CYCLE_1)
	s_and_not1_b32 s20, s20, exec_lo
	s_and_b32 s3, s3, exec_lo
	s_and_not1_b32 s19, s19, exec_lo
	s_and_b32 s2, s2, exec_lo
	s_or_b32 s20, s20, s3
	s_or_b32 s19, s19, s2
.LBB10_9:                               ;   in Loop: Header=BB10_10 Depth=1
	s_or_b32 exec_lo, exec_lo, s21
	s_delay_alu instid0(SALU_CYCLE_1) | instskip(NEXT) | instid1(SALU_CYCLE_1)
	s_and_b32 s2, exec_lo, s19
	s_or_b32 s11, s2, s11
	s_and_not1_b32 s2, s18, exec_lo
	s_and_b32 s3, s20, exec_lo
	s_delay_alu instid0(SALU_CYCLE_1)
	s_or_b32 s18, s2, s3
	s_and_not1_b32 exec_lo, exec_lo, s11
	s_cbranch_execz .LBB10_27
.LBB10_10:                              ; =>This Inner Loop Header: Depth=1
	global_load_b32 v8, v0, s[4:5] scale_offset
	v_mov_b32_e32 v7, 4
	s_or_b32 s20, s20, exec_lo
	s_or_b32 s19, s19, exec_lo
	s_wait_loadcnt 0x0
	v_subrev_nc_u32_e32 v9, s8, v8
	s_delay_alu instid0(VALU_DEP_1) | instskip(SKIP_2) | instid1(SALU_CYCLE_1)
	v_cmp_lt_i32_e32 vcc_lo, -1, v9
	v_cmp_gt_i32_e64 s2, s13, v9
	s_and_b32 s2, vcc_lo, s2
	s_and_saveexec_b32 s21, s2
	s_cbranch_execz .LBB10_9
; %bb.11:                               ;   in Loop: Header=BB10_10 Depth=1
	v_cmp_le_i32_e64 s25, v0, v6
	v_dual_ashrrev_i32 v1, 31, v0 :: v_dual_mov_b32 v7, 4
	s_mov_b32 s22, exec_lo
	s_mov_b32 s23, s25
	v_cmpx_gt_i32_e64 v0, v6
	s_cbranch_execz .LBB10_13
; %bb.12:                               ;   in Loop: Header=BB10_10 Depth=1
	v_lshl_add_u64 v[2:3], v[0:1], 2, s[6:7]
	global_load_b64 v[2:3], v[2:3], off offset:-4
	s_wait_loadcnt 0x0
	v_subrev_nc_u32_e32 v7, s8, v2
	v_cmp_ne_u32_e64 s3, v3, v2
	s_delay_alu instid0(VALU_DEP_2) | instskip(SKIP_3) | instid1(SALU_CYCLE_1)
	v_cmp_lt_i32_e32 vcc_lo, -1, v7
	v_cmp_gt_i32_e64 s2, s13, v7
	v_mov_b32_e32 v7, 5
	s_and_b32 s2, vcc_lo, s2
	s_xor_b32 s2, s2, -1
	s_delay_alu instid0(SALU_CYCLE_1) | instskip(SKIP_2) | instid1(SALU_CYCLE_1)
	s_or_b32 s2, s3, s2
	s_and_not1_b32 s3, s25, exec_lo
	s_and_b32 s2, s2, exec_lo
	s_or_b32 s23, s3, s2
.LBB10_13:                              ;   in Loop: Header=BB10_10 Depth=1
	s_or_b32 exec_lo, exec_lo, s22
	s_mov_b32 s2, -1
	s_mov_b32 s3, -1
	s_and_saveexec_b32 s22, s23
	s_cbranch_execz .LBB10_8
; %bb.14:                               ;   in Loop: Header=BB10_10 Depth=1
	v_lshl_add_u64 v[2:3], v[0:1], 3, s[14:15]
	v_mov_b32_e32 v7, 1
	s_mov_b32 s23, exec_lo
	global_load_b64 v[2:3], v[2:3], off
	s_wait_loadcnt 0x0
	v_cmpx_neq_f64_e32 0x7ff00000, v[2:3]
	s_cbranch_execz .LBB10_7
; %bb.15:                               ;   in Loop: Header=BB10_10 Depth=1
	v_mov_b32_e32 v7, 2
	s_mov_b32 s24, exec_lo
	v_cmpx_o_f64_e32 v[2:3], v[2:3]
	s_cbranch_execz .LBB10_6
; %bb.16:                               ;   in Loop: Header=BB10_10 Depth=1
	s_and_b32 vcc_lo, exec_lo, s9
	s_cbranch_vccz .LBB10_19
; %bb.17:                               ;   in Loop: Header=BB10_10 Depth=1
	s_and_b32 vcc_lo, exec_lo, s10
	s_cbranch_vccz .LBB10_20
; %bb.18:                               ;   in Loop: Header=BB10_10 Depth=1
	v_cmp_le_i32_e32 vcc_lo, v4, v9
	s_mov_b32 s3, 7
	s_and_b32 s27, vcc_lo, exec_lo
	s_cbranch_execz .LBB10_21
	s_branch .LBB10_22
.LBB10_19:                              ;   in Loop: Header=BB10_10 Depth=1
	s_mov_b32 s3, 2
	s_mov_b32 s27, -1
	s_branch .LBB10_22
.LBB10_20:                              ;   in Loop: Header=BB10_10 Depth=1
	s_mov_b32 s27, 0
	s_mov_b32 s3, 2
.LBB10_21:                              ;   in Loop: Header=BB10_10 Depth=1
	v_cmp_ge_i32_e32 vcc_lo, v4, v9
	s_and_not1_b32 s26, s27, exec_lo
	s_mov_b32 s3, 7
	s_and_b32 s27, vcc_lo, exec_lo
	s_delay_alu instid0(SALU_CYCLE_1)
	s_or_b32 s27, s26, s27
.LBB10_22:                              ;   in Loop: Header=BB10_10 Depth=1
	v_mov_b32_e32 v7, s3
	s_mov_b32 s28, -1
	s_and_saveexec_b32 s26, s27
	s_cbranch_execz .LBB10_5
; %bb.23:                               ;   in Loop: Header=BB10_10 Depth=1
	v_mov_b32_e32 v7, s3
	s_nor_b32 s3, s17, s25
	s_mov_b32 s25, -1
	s_and_saveexec_b32 s27, s3
	s_cbranch_execz .LBB10_25
; %bb.24:                               ;   in Loop: Header=BB10_10 Depth=1
	v_lshl_add_u64 v[2:3], v[0:1], 2, s[4:5]
	v_mov_b32_e32 v7, 6
	global_load_b32 v1, v[2:3], off offset:-4
	s_wait_loadcnt 0x0
	v_subrev_nc_u32_e32 v2, s8, v1
	v_cmp_gt_i32_e64 s3, v8, v1
	s_delay_alu instid0(VALU_DEP_2) | instskip(SKIP_2) | instid1(SALU_CYCLE_1)
	v_cmp_lt_i32_e32 vcc_lo, -1, v2
	v_cmp_gt_i32_e64 s2, s13, v2
	s_and_b32 s2, vcc_lo, s2
	s_xor_b32 s2, s2, -1
	s_delay_alu instid0(SALU_CYCLE_1) | instskip(NEXT) | instid1(SALU_CYCLE_1)
	s_or_b32 s2, s3, s2
	s_or_not1_b32 s2, s2, exec_lo
.LBB10_25:                              ;   in Loop: Header=BB10_10 Depth=1
	s_or_b32 exec_lo, exec_lo, s27
	s_mov_b32 s3, -1
	s_and_saveexec_b32 s27, s2
	s_cbranch_execz .LBB10_4
; %bb.26:                               ;   in Loop: Header=BB10_10 Depth=1
	v_add_nc_u32_e32 v0, 8, v0
	s_xor_b32 s3, exec_lo, -1
	s_delay_alu instid0(VALU_DEP_1)
	v_cmp_ge_i32_e32 vcc_lo, v0, v5
	s_or_not1_b32 s25, vcc_lo, exec_lo
	s_branch .LBB10_4
.LBB10_27:
	s_or_b32 exec_lo, exec_lo, s11
	s_delay_alu instid0(SALU_CYCLE_1)
	s_and_b32 s2, s18, exec_lo
.LBB10_28:
	s_or_b32 exec_lo, exec_lo, s16
	s_delay_alu instid0(SALU_CYCLE_1)
	s_or_not1_b32 s2, s2, exec_lo
.LBB10_29:
	s_or_b32 exec_lo, exec_lo, s12
	s_delay_alu instid0(SALU_CYCLE_1)
	s_and_b32 exec_lo, exec_lo, s2
	s_cbranch_execz .LBB10_31
; %bb.30:
	s_load_b64 s[0:1], s[0:1], 0x40
	v_mov_b32_e32 v0, 0
	s_wait_kmcnt 0x0
	global_store_b32 v0, v7, s[0:1]
.LBB10_31:
	s_endpgm
	.section	.rodata,"a",@progbits
	.p2align	6, 0x0
	.amdhsa_kernel _ZN9rocsparseL23check_matrix_csr_deviceILj256ELj8EdiiEEvT3_S1_T2_PKT1_PKS2_PKS1_S9_21rocsparse_index_base_22rocsparse_matrix_type_20rocsparse_fill_mode_23rocsparse_storage_mode_P22rocsparse_data_status_
		.amdhsa_group_segment_fixed_size 0
		.amdhsa_private_segment_fixed_size 0
		.amdhsa_kernarg_size 72
		.amdhsa_user_sgpr_count 2
		.amdhsa_user_sgpr_dispatch_ptr 0
		.amdhsa_user_sgpr_queue_ptr 0
		.amdhsa_user_sgpr_kernarg_segment_ptr 1
		.amdhsa_user_sgpr_dispatch_id 0
		.amdhsa_user_sgpr_kernarg_preload_length 0
		.amdhsa_user_sgpr_kernarg_preload_offset 0
		.amdhsa_user_sgpr_private_segment_size 0
		.amdhsa_wavefront_size32 1
		.amdhsa_uses_dynamic_stack 0
		.amdhsa_enable_private_segment 0
		.amdhsa_system_sgpr_workgroup_id_x 1
		.amdhsa_system_sgpr_workgroup_id_y 0
		.amdhsa_system_sgpr_workgroup_id_z 0
		.amdhsa_system_sgpr_workgroup_info 0
		.amdhsa_system_vgpr_workitem_id 0
		.amdhsa_next_free_vgpr 10
		.amdhsa_next_free_sgpr 29
		.amdhsa_named_barrier_count 0
		.amdhsa_reserve_vcc 1
		.amdhsa_float_round_mode_32 0
		.amdhsa_float_round_mode_16_64 0
		.amdhsa_float_denorm_mode_32 3
		.amdhsa_float_denorm_mode_16_64 3
		.amdhsa_fp16_overflow 0
		.amdhsa_memory_ordered 1
		.amdhsa_forward_progress 1
		.amdhsa_inst_pref_size 8
		.amdhsa_round_robin_scheduling 0
		.amdhsa_exception_fp_ieee_invalid_op 0
		.amdhsa_exception_fp_denorm_src 0
		.amdhsa_exception_fp_ieee_div_zero 0
		.amdhsa_exception_fp_ieee_overflow 0
		.amdhsa_exception_fp_ieee_underflow 0
		.amdhsa_exception_fp_ieee_inexact 0
		.amdhsa_exception_int_div_zero 0
	.end_amdhsa_kernel
	.section	.text._ZN9rocsparseL23check_matrix_csr_deviceILj256ELj8EdiiEEvT3_S1_T2_PKT1_PKS2_PKS1_S9_21rocsparse_index_base_22rocsparse_matrix_type_20rocsparse_fill_mode_23rocsparse_storage_mode_P22rocsparse_data_status_,"axG",@progbits,_ZN9rocsparseL23check_matrix_csr_deviceILj256ELj8EdiiEEvT3_S1_T2_PKT1_PKS2_PKS1_S9_21rocsparse_index_base_22rocsparse_matrix_type_20rocsparse_fill_mode_23rocsparse_storage_mode_P22rocsparse_data_status_,comdat
.Lfunc_end10:
	.size	_ZN9rocsparseL23check_matrix_csr_deviceILj256ELj8EdiiEEvT3_S1_T2_PKT1_PKS2_PKS1_S9_21rocsparse_index_base_22rocsparse_matrix_type_20rocsparse_fill_mode_23rocsparse_storage_mode_P22rocsparse_data_status_, .Lfunc_end10-_ZN9rocsparseL23check_matrix_csr_deviceILj256ELj8EdiiEEvT3_S1_T2_PKT1_PKS2_PKS1_S9_21rocsparse_index_base_22rocsparse_matrix_type_20rocsparse_fill_mode_23rocsparse_storage_mode_P22rocsparse_data_status_
                                        ; -- End function
	.set _ZN9rocsparseL23check_matrix_csr_deviceILj256ELj8EdiiEEvT3_S1_T2_PKT1_PKS2_PKS1_S9_21rocsparse_index_base_22rocsparse_matrix_type_20rocsparse_fill_mode_23rocsparse_storage_mode_P22rocsparse_data_status_.num_vgpr, 10
	.set _ZN9rocsparseL23check_matrix_csr_deviceILj256ELj8EdiiEEvT3_S1_T2_PKT1_PKS2_PKS1_S9_21rocsparse_index_base_22rocsparse_matrix_type_20rocsparse_fill_mode_23rocsparse_storage_mode_P22rocsparse_data_status_.num_agpr, 0
	.set _ZN9rocsparseL23check_matrix_csr_deviceILj256ELj8EdiiEEvT3_S1_T2_PKT1_PKS2_PKS1_S9_21rocsparse_index_base_22rocsparse_matrix_type_20rocsparse_fill_mode_23rocsparse_storage_mode_P22rocsparse_data_status_.numbered_sgpr, 29
	.set _ZN9rocsparseL23check_matrix_csr_deviceILj256ELj8EdiiEEvT3_S1_T2_PKT1_PKS2_PKS1_S9_21rocsparse_index_base_22rocsparse_matrix_type_20rocsparse_fill_mode_23rocsparse_storage_mode_P22rocsparse_data_status_.num_named_barrier, 0
	.set _ZN9rocsparseL23check_matrix_csr_deviceILj256ELj8EdiiEEvT3_S1_T2_PKT1_PKS2_PKS1_S9_21rocsparse_index_base_22rocsparse_matrix_type_20rocsparse_fill_mode_23rocsparse_storage_mode_P22rocsparse_data_status_.private_seg_size, 0
	.set _ZN9rocsparseL23check_matrix_csr_deviceILj256ELj8EdiiEEvT3_S1_T2_PKT1_PKS2_PKS1_S9_21rocsparse_index_base_22rocsparse_matrix_type_20rocsparse_fill_mode_23rocsparse_storage_mode_P22rocsparse_data_status_.uses_vcc, 1
	.set _ZN9rocsparseL23check_matrix_csr_deviceILj256ELj8EdiiEEvT3_S1_T2_PKT1_PKS2_PKS1_S9_21rocsparse_index_base_22rocsparse_matrix_type_20rocsparse_fill_mode_23rocsparse_storage_mode_P22rocsparse_data_status_.uses_flat_scratch, 0
	.set _ZN9rocsparseL23check_matrix_csr_deviceILj256ELj8EdiiEEvT3_S1_T2_PKT1_PKS2_PKS1_S9_21rocsparse_index_base_22rocsparse_matrix_type_20rocsparse_fill_mode_23rocsparse_storage_mode_P22rocsparse_data_status_.has_dyn_sized_stack, 0
	.set _ZN9rocsparseL23check_matrix_csr_deviceILj256ELj8EdiiEEvT3_S1_T2_PKT1_PKS2_PKS1_S9_21rocsparse_index_base_22rocsparse_matrix_type_20rocsparse_fill_mode_23rocsparse_storage_mode_P22rocsparse_data_status_.has_recursion, 0
	.set _ZN9rocsparseL23check_matrix_csr_deviceILj256ELj8EdiiEEvT3_S1_T2_PKT1_PKS2_PKS1_S9_21rocsparse_index_base_22rocsparse_matrix_type_20rocsparse_fill_mode_23rocsparse_storage_mode_P22rocsparse_data_status_.has_indirect_call, 0
	.section	.AMDGPU.csdata,"",@progbits
; Kernel info:
; codeLenInByte = 1000
; TotalNumSgprs: 31
; NumVgprs: 10
; ScratchSize: 0
; MemoryBound: 0
; FloatMode: 240
; IeeeMode: 1
; LDSByteSize: 0 bytes/workgroup (compile time only)
; SGPRBlocks: 0
; VGPRBlocks: 0
; NumSGPRsForWavesPerEU: 31
; NumVGPRsForWavesPerEU: 10
; NamedBarCnt: 0
; Occupancy: 16
; WaveLimiterHint : 0
; COMPUTE_PGM_RSRC2:SCRATCH_EN: 0
; COMPUTE_PGM_RSRC2:USER_SGPR: 2
; COMPUTE_PGM_RSRC2:TRAP_HANDLER: 0
; COMPUTE_PGM_RSRC2:TGID_X_EN: 1
; COMPUTE_PGM_RSRC2:TGID_Y_EN: 0
; COMPUTE_PGM_RSRC2:TGID_Z_EN: 0
; COMPUTE_PGM_RSRC2:TIDIG_COMP_CNT: 0
	.section	.text._ZN9rocsparseL23check_matrix_csr_deviceILj256ELj16EdiiEEvT3_S1_T2_PKT1_PKS2_PKS1_S9_21rocsparse_index_base_22rocsparse_matrix_type_20rocsparse_fill_mode_23rocsparse_storage_mode_P22rocsparse_data_status_,"axG",@progbits,_ZN9rocsparseL23check_matrix_csr_deviceILj256ELj16EdiiEEvT3_S1_T2_PKT1_PKS2_PKS1_S9_21rocsparse_index_base_22rocsparse_matrix_type_20rocsparse_fill_mode_23rocsparse_storage_mode_P22rocsparse_data_status_,comdat
	.globl	_ZN9rocsparseL23check_matrix_csr_deviceILj256ELj16EdiiEEvT3_S1_T2_PKT1_PKS2_PKS1_S9_21rocsparse_index_base_22rocsparse_matrix_type_20rocsparse_fill_mode_23rocsparse_storage_mode_P22rocsparse_data_status_ ; -- Begin function _ZN9rocsparseL23check_matrix_csr_deviceILj256ELj16EdiiEEvT3_S1_T2_PKT1_PKS2_PKS1_S9_21rocsparse_index_base_22rocsparse_matrix_type_20rocsparse_fill_mode_23rocsparse_storage_mode_P22rocsparse_data_status_
	.p2align	8
	.type	_ZN9rocsparseL23check_matrix_csr_deviceILj256ELj16EdiiEEvT3_S1_T2_PKT1_PKS2_PKS1_S9_21rocsparse_index_base_22rocsparse_matrix_type_20rocsparse_fill_mode_23rocsparse_storage_mode_P22rocsparse_data_status_,@function
_ZN9rocsparseL23check_matrix_csr_deviceILj256ELj16EdiiEEvT3_S1_T2_PKT1_PKS2_PKS1_S9_21rocsparse_index_base_22rocsparse_matrix_type_20rocsparse_fill_mode_23rocsparse_storage_mode_P22rocsparse_data_status_: ; @_ZN9rocsparseL23check_matrix_csr_deviceILj256ELj16EdiiEEvT3_S1_T2_PKT1_PKS2_PKS1_S9_21rocsparse_index_base_22rocsparse_matrix_type_20rocsparse_fill_mode_23rocsparse_storage_mode_P22rocsparse_data_status_
; %bb.0:
	s_bfe_u32 s2, ttmp6, 0x4000c
	s_load_b64 s[12:13], s[0:1], 0x0
	s_add_co_i32 s2, s2, 1
	s_and_b32 s3, ttmp6, 15
	s_mul_i32 s2, ttmp9, s2
	s_getreg_b32 s4, hwreg(HW_REG_IB_STS2, 6, 4)
	s_add_co_i32 s3, s3, s2
	s_cmp_eq_u32 s4, 0
	s_cselect_b32 s2, ttmp9, s3
	s_delay_alu instid0(SALU_CYCLE_1) | instskip(SKIP_1) | instid1(VALU_DEP_1)
	v_lshl_or_b32 v1, s2, 8, v0
	s_mov_b32 s2, exec_lo
	v_lshrrev_b32_e32 v4, 4, v1
	s_wait_kmcnt 0x0
	s_delay_alu instid0(VALU_DEP_1)
	v_cmpx_gt_i32_e64 s12, v4
	s_cbranch_execz .LBB11_31
; %bb.1:
	s_load_b64 s[2:3], s[0:1], 0x18
	v_dual_lshlrev_b32 v1, 2, v4 :: v_dual_mov_b32 v7, 3
	s_wait_kmcnt 0x0
	global_load_b64 v[2:3], v1, s[2:3]
	s_wait_xcnt 0x0
	s_load_b32 s2, s[2:3], 0x0
	s_wait_loadcnt 0x0
	s_wait_kmcnt 0x0
	v_subrev_nc_u32_e32 v5, s2, v3
	v_subrev_nc_u32_e32 v6, s2, v2
	v_cmp_lt_i32_e64 s2, v3, v2
	s_delay_alu instid0(VALU_DEP_3) | instskip(NEXT) | instid1(VALU_DEP_3)
	v_cmp_gt_i32_e32 vcc_lo, 0, v5
	v_cmp_lt_i32_e64 s3, -1, v6
	s_or_b32 s2, vcc_lo, s2
	s_delay_alu instid0(SALU_CYCLE_1) | instskip(SKIP_2) | instid1(SALU_CYCLE_1)
	s_xor_b32 s4, s2, -1
	s_mov_b32 s2, -1
	s_and_b32 s3, s3, s4
	s_and_saveexec_b32 s12, s3
	s_cbranch_execz .LBB11_29
; %bb.2:
	v_dual_mov_b32 v7, 3 :: v_dual_bitop2_b32 v0, 15, v0 bitop3:0x40
	s_mov_b32 s2, 0
	s_mov_b32 s16, exec_lo
	s_delay_alu instid0(VALU_DEP_1) | instskip(NEXT) | instid1(VALU_DEP_1)
	v_add_nc_u32_e32 v0, v6, v0
	v_cmpx_lt_u32_e64 v0, v5
	s_cbranch_execz .LBB11_28
; %bb.3:
	s_clause 0x1
	s_load_b256 s[4:11], s[0:1], 0x20
	s_load_b64 s[14:15], s[0:1], 0x10
                                        ; implicit-def: $sgpr18
                                        ; implicit-def: $sgpr19
                                        ; implicit-def: $sgpr20
	s_wait_kmcnt 0x0
	s_cmp_lg_u32 s9, 0
	s_cselect_b32 s9, -1, 0
	s_cmp_lg_u32 s10, 0
	s_cselect_b32 s10, -1, 0
	s_cmp_lg_u32 s11, 0
	s_mov_b32 s11, 0
	s_cselect_b32 s17, -1, 0
	s_branch .LBB11_10
.LBB11_4:                               ;   in Loop: Header=BB11_10 Depth=1
	s_or_b32 exec_lo, exec_lo, s27
	s_delay_alu instid0(SALU_CYCLE_1)
	s_or_not1_b32 s28, s3, exec_lo
	s_or_not1_b32 s2, s25, exec_lo
.LBB11_5:                               ;   in Loop: Header=BB11_10 Depth=1
	s_or_b32 exec_lo, exec_lo, s26
	s_delay_alu instid0(SALU_CYCLE_1)
	s_or_not1_b32 s3, s28, exec_lo
	s_or_not1_b32 s2, s2, exec_lo
.LBB11_6:                               ;   in Loop: Header=BB11_10 Depth=1
	s_or_b32 exec_lo, exec_lo, s24
	s_delay_alu instid0(SALU_CYCLE_1)
	s_or_not1_b32 s3, s3, exec_lo
	s_or_not1_b32 s2, s2, exec_lo
.LBB11_7:                               ;   in Loop: Header=BB11_10 Depth=1
	s_or_b32 exec_lo, exec_lo, s23
	s_delay_alu instid0(SALU_CYCLE_1)
	s_or_not1_b32 s3, s3, exec_lo
	s_or_not1_b32 s2, s2, exec_lo
.LBB11_8:                               ;   in Loop: Header=BB11_10 Depth=1
	s_or_b32 exec_lo, exec_lo, s22
	s_delay_alu instid0(SALU_CYCLE_1)
	s_and_not1_b32 s20, s20, exec_lo
	s_and_b32 s3, s3, exec_lo
	s_and_not1_b32 s19, s19, exec_lo
	s_and_b32 s2, s2, exec_lo
	s_or_b32 s20, s20, s3
	s_or_b32 s19, s19, s2
.LBB11_9:                               ;   in Loop: Header=BB11_10 Depth=1
	s_or_b32 exec_lo, exec_lo, s21
	s_delay_alu instid0(SALU_CYCLE_1) | instskip(NEXT) | instid1(SALU_CYCLE_1)
	s_and_b32 s2, exec_lo, s19
	s_or_b32 s11, s2, s11
	s_and_not1_b32 s2, s18, exec_lo
	s_and_b32 s3, s20, exec_lo
	s_delay_alu instid0(SALU_CYCLE_1)
	s_or_b32 s18, s2, s3
	s_and_not1_b32 exec_lo, exec_lo, s11
	s_cbranch_execz .LBB11_27
.LBB11_10:                              ; =>This Inner Loop Header: Depth=1
	global_load_b32 v8, v0, s[4:5] scale_offset
	v_mov_b32_e32 v7, 4
	s_or_b32 s20, s20, exec_lo
	s_or_b32 s19, s19, exec_lo
	s_wait_loadcnt 0x0
	v_subrev_nc_u32_e32 v9, s8, v8
	s_delay_alu instid0(VALU_DEP_1) | instskip(SKIP_2) | instid1(SALU_CYCLE_1)
	v_cmp_lt_i32_e32 vcc_lo, -1, v9
	v_cmp_gt_i32_e64 s2, s13, v9
	s_and_b32 s2, vcc_lo, s2
	s_and_saveexec_b32 s21, s2
	s_cbranch_execz .LBB11_9
; %bb.11:                               ;   in Loop: Header=BB11_10 Depth=1
	v_cmp_le_i32_e64 s25, v0, v6
	v_dual_ashrrev_i32 v1, 31, v0 :: v_dual_mov_b32 v7, 4
	s_mov_b32 s22, exec_lo
	s_mov_b32 s23, s25
	v_cmpx_gt_i32_e64 v0, v6
	s_cbranch_execz .LBB11_13
; %bb.12:                               ;   in Loop: Header=BB11_10 Depth=1
	v_lshl_add_u64 v[2:3], v[0:1], 2, s[6:7]
	global_load_b64 v[2:3], v[2:3], off offset:-4
	s_wait_loadcnt 0x0
	v_subrev_nc_u32_e32 v7, s8, v2
	v_cmp_ne_u32_e64 s3, v3, v2
	s_delay_alu instid0(VALU_DEP_2) | instskip(SKIP_3) | instid1(SALU_CYCLE_1)
	v_cmp_lt_i32_e32 vcc_lo, -1, v7
	v_cmp_gt_i32_e64 s2, s13, v7
	v_mov_b32_e32 v7, 5
	s_and_b32 s2, vcc_lo, s2
	s_xor_b32 s2, s2, -1
	s_delay_alu instid0(SALU_CYCLE_1) | instskip(SKIP_2) | instid1(SALU_CYCLE_1)
	s_or_b32 s2, s3, s2
	s_and_not1_b32 s3, s25, exec_lo
	s_and_b32 s2, s2, exec_lo
	s_or_b32 s23, s3, s2
.LBB11_13:                              ;   in Loop: Header=BB11_10 Depth=1
	s_or_b32 exec_lo, exec_lo, s22
	s_mov_b32 s2, -1
	s_mov_b32 s3, -1
	s_and_saveexec_b32 s22, s23
	s_cbranch_execz .LBB11_8
; %bb.14:                               ;   in Loop: Header=BB11_10 Depth=1
	v_lshl_add_u64 v[2:3], v[0:1], 3, s[14:15]
	v_mov_b32_e32 v7, 1
	s_mov_b32 s23, exec_lo
	global_load_b64 v[2:3], v[2:3], off
	s_wait_loadcnt 0x0
	v_cmpx_neq_f64_e32 0x7ff00000, v[2:3]
	s_cbranch_execz .LBB11_7
; %bb.15:                               ;   in Loop: Header=BB11_10 Depth=1
	v_mov_b32_e32 v7, 2
	s_mov_b32 s24, exec_lo
	v_cmpx_o_f64_e32 v[2:3], v[2:3]
	s_cbranch_execz .LBB11_6
; %bb.16:                               ;   in Loop: Header=BB11_10 Depth=1
	s_and_b32 vcc_lo, exec_lo, s9
	s_cbranch_vccz .LBB11_19
; %bb.17:                               ;   in Loop: Header=BB11_10 Depth=1
	s_and_b32 vcc_lo, exec_lo, s10
	s_cbranch_vccz .LBB11_20
; %bb.18:                               ;   in Loop: Header=BB11_10 Depth=1
	v_cmp_le_i32_e32 vcc_lo, v4, v9
	s_mov_b32 s3, 7
	s_and_b32 s27, vcc_lo, exec_lo
	s_cbranch_execz .LBB11_21
	s_branch .LBB11_22
.LBB11_19:                              ;   in Loop: Header=BB11_10 Depth=1
	s_mov_b32 s3, 2
	s_mov_b32 s27, -1
	s_branch .LBB11_22
.LBB11_20:                              ;   in Loop: Header=BB11_10 Depth=1
	s_mov_b32 s27, 0
	s_mov_b32 s3, 2
.LBB11_21:                              ;   in Loop: Header=BB11_10 Depth=1
	v_cmp_ge_i32_e32 vcc_lo, v4, v9
	s_and_not1_b32 s26, s27, exec_lo
	s_mov_b32 s3, 7
	s_and_b32 s27, vcc_lo, exec_lo
	s_delay_alu instid0(SALU_CYCLE_1)
	s_or_b32 s27, s26, s27
.LBB11_22:                              ;   in Loop: Header=BB11_10 Depth=1
	v_mov_b32_e32 v7, s3
	s_mov_b32 s28, -1
	s_and_saveexec_b32 s26, s27
	s_cbranch_execz .LBB11_5
; %bb.23:                               ;   in Loop: Header=BB11_10 Depth=1
	v_mov_b32_e32 v7, s3
	s_nor_b32 s3, s17, s25
	s_mov_b32 s25, -1
	s_and_saveexec_b32 s27, s3
	s_cbranch_execz .LBB11_25
; %bb.24:                               ;   in Loop: Header=BB11_10 Depth=1
	v_lshl_add_u64 v[2:3], v[0:1], 2, s[4:5]
	v_mov_b32_e32 v7, 6
	global_load_b32 v1, v[2:3], off offset:-4
	s_wait_loadcnt 0x0
	v_subrev_nc_u32_e32 v2, s8, v1
	v_cmp_gt_i32_e64 s3, v8, v1
	s_delay_alu instid0(VALU_DEP_2) | instskip(SKIP_2) | instid1(SALU_CYCLE_1)
	v_cmp_lt_i32_e32 vcc_lo, -1, v2
	v_cmp_gt_i32_e64 s2, s13, v2
	s_and_b32 s2, vcc_lo, s2
	s_xor_b32 s2, s2, -1
	s_delay_alu instid0(SALU_CYCLE_1) | instskip(NEXT) | instid1(SALU_CYCLE_1)
	s_or_b32 s2, s3, s2
	s_or_not1_b32 s2, s2, exec_lo
.LBB11_25:                              ;   in Loop: Header=BB11_10 Depth=1
	s_or_b32 exec_lo, exec_lo, s27
	s_mov_b32 s3, -1
	s_and_saveexec_b32 s27, s2
	s_cbranch_execz .LBB11_4
; %bb.26:                               ;   in Loop: Header=BB11_10 Depth=1
	v_add_nc_u32_e32 v0, 16, v0
	s_xor_b32 s3, exec_lo, -1
	s_delay_alu instid0(VALU_DEP_1)
	v_cmp_ge_i32_e32 vcc_lo, v0, v5
	s_or_not1_b32 s25, vcc_lo, exec_lo
	s_branch .LBB11_4
.LBB11_27:
	s_or_b32 exec_lo, exec_lo, s11
	s_delay_alu instid0(SALU_CYCLE_1)
	s_and_b32 s2, s18, exec_lo
.LBB11_28:
	s_or_b32 exec_lo, exec_lo, s16
	s_delay_alu instid0(SALU_CYCLE_1)
	s_or_not1_b32 s2, s2, exec_lo
.LBB11_29:
	s_or_b32 exec_lo, exec_lo, s12
	s_delay_alu instid0(SALU_CYCLE_1)
	s_and_b32 exec_lo, exec_lo, s2
	s_cbranch_execz .LBB11_31
; %bb.30:
	s_load_b64 s[0:1], s[0:1], 0x40
	v_mov_b32_e32 v0, 0
	s_wait_kmcnt 0x0
	global_store_b32 v0, v7, s[0:1]
.LBB11_31:
	s_endpgm
	.section	.rodata,"a",@progbits
	.p2align	6, 0x0
	.amdhsa_kernel _ZN9rocsparseL23check_matrix_csr_deviceILj256ELj16EdiiEEvT3_S1_T2_PKT1_PKS2_PKS1_S9_21rocsparse_index_base_22rocsparse_matrix_type_20rocsparse_fill_mode_23rocsparse_storage_mode_P22rocsparse_data_status_
		.amdhsa_group_segment_fixed_size 0
		.amdhsa_private_segment_fixed_size 0
		.amdhsa_kernarg_size 72
		.amdhsa_user_sgpr_count 2
		.amdhsa_user_sgpr_dispatch_ptr 0
		.amdhsa_user_sgpr_queue_ptr 0
		.amdhsa_user_sgpr_kernarg_segment_ptr 1
		.amdhsa_user_sgpr_dispatch_id 0
		.amdhsa_user_sgpr_kernarg_preload_length 0
		.amdhsa_user_sgpr_kernarg_preload_offset 0
		.amdhsa_user_sgpr_private_segment_size 0
		.amdhsa_wavefront_size32 1
		.amdhsa_uses_dynamic_stack 0
		.amdhsa_enable_private_segment 0
		.amdhsa_system_sgpr_workgroup_id_x 1
		.amdhsa_system_sgpr_workgroup_id_y 0
		.amdhsa_system_sgpr_workgroup_id_z 0
		.amdhsa_system_sgpr_workgroup_info 0
		.amdhsa_system_vgpr_workitem_id 0
		.amdhsa_next_free_vgpr 10
		.amdhsa_next_free_sgpr 29
		.amdhsa_named_barrier_count 0
		.amdhsa_reserve_vcc 1
		.amdhsa_float_round_mode_32 0
		.amdhsa_float_round_mode_16_64 0
		.amdhsa_float_denorm_mode_32 3
		.amdhsa_float_denorm_mode_16_64 3
		.amdhsa_fp16_overflow 0
		.amdhsa_memory_ordered 1
		.amdhsa_forward_progress 1
		.amdhsa_inst_pref_size 8
		.amdhsa_round_robin_scheduling 0
		.amdhsa_exception_fp_ieee_invalid_op 0
		.amdhsa_exception_fp_denorm_src 0
		.amdhsa_exception_fp_ieee_div_zero 0
		.amdhsa_exception_fp_ieee_overflow 0
		.amdhsa_exception_fp_ieee_underflow 0
		.amdhsa_exception_fp_ieee_inexact 0
		.amdhsa_exception_int_div_zero 0
	.end_amdhsa_kernel
	.section	.text._ZN9rocsparseL23check_matrix_csr_deviceILj256ELj16EdiiEEvT3_S1_T2_PKT1_PKS2_PKS1_S9_21rocsparse_index_base_22rocsparse_matrix_type_20rocsparse_fill_mode_23rocsparse_storage_mode_P22rocsparse_data_status_,"axG",@progbits,_ZN9rocsparseL23check_matrix_csr_deviceILj256ELj16EdiiEEvT3_S1_T2_PKT1_PKS2_PKS1_S9_21rocsparse_index_base_22rocsparse_matrix_type_20rocsparse_fill_mode_23rocsparse_storage_mode_P22rocsparse_data_status_,comdat
.Lfunc_end11:
	.size	_ZN9rocsparseL23check_matrix_csr_deviceILj256ELj16EdiiEEvT3_S1_T2_PKT1_PKS2_PKS1_S9_21rocsparse_index_base_22rocsparse_matrix_type_20rocsparse_fill_mode_23rocsparse_storage_mode_P22rocsparse_data_status_, .Lfunc_end11-_ZN9rocsparseL23check_matrix_csr_deviceILj256ELj16EdiiEEvT3_S1_T2_PKT1_PKS2_PKS1_S9_21rocsparse_index_base_22rocsparse_matrix_type_20rocsparse_fill_mode_23rocsparse_storage_mode_P22rocsparse_data_status_
                                        ; -- End function
	.set _ZN9rocsparseL23check_matrix_csr_deviceILj256ELj16EdiiEEvT3_S1_T2_PKT1_PKS2_PKS1_S9_21rocsparse_index_base_22rocsparse_matrix_type_20rocsparse_fill_mode_23rocsparse_storage_mode_P22rocsparse_data_status_.num_vgpr, 10
	.set _ZN9rocsparseL23check_matrix_csr_deviceILj256ELj16EdiiEEvT3_S1_T2_PKT1_PKS2_PKS1_S9_21rocsparse_index_base_22rocsparse_matrix_type_20rocsparse_fill_mode_23rocsparse_storage_mode_P22rocsparse_data_status_.num_agpr, 0
	.set _ZN9rocsparseL23check_matrix_csr_deviceILj256ELj16EdiiEEvT3_S1_T2_PKT1_PKS2_PKS1_S9_21rocsparse_index_base_22rocsparse_matrix_type_20rocsparse_fill_mode_23rocsparse_storage_mode_P22rocsparse_data_status_.numbered_sgpr, 29
	.set _ZN9rocsparseL23check_matrix_csr_deviceILj256ELj16EdiiEEvT3_S1_T2_PKT1_PKS2_PKS1_S9_21rocsparse_index_base_22rocsparse_matrix_type_20rocsparse_fill_mode_23rocsparse_storage_mode_P22rocsparse_data_status_.num_named_barrier, 0
	.set _ZN9rocsparseL23check_matrix_csr_deviceILj256ELj16EdiiEEvT3_S1_T2_PKT1_PKS2_PKS1_S9_21rocsparse_index_base_22rocsparse_matrix_type_20rocsparse_fill_mode_23rocsparse_storage_mode_P22rocsparse_data_status_.private_seg_size, 0
	.set _ZN9rocsparseL23check_matrix_csr_deviceILj256ELj16EdiiEEvT3_S1_T2_PKT1_PKS2_PKS1_S9_21rocsparse_index_base_22rocsparse_matrix_type_20rocsparse_fill_mode_23rocsparse_storage_mode_P22rocsparse_data_status_.uses_vcc, 1
	.set _ZN9rocsparseL23check_matrix_csr_deviceILj256ELj16EdiiEEvT3_S1_T2_PKT1_PKS2_PKS1_S9_21rocsparse_index_base_22rocsparse_matrix_type_20rocsparse_fill_mode_23rocsparse_storage_mode_P22rocsparse_data_status_.uses_flat_scratch, 0
	.set _ZN9rocsparseL23check_matrix_csr_deviceILj256ELj16EdiiEEvT3_S1_T2_PKT1_PKS2_PKS1_S9_21rocsparse_index_base_22rocsparse_matrix_type_20rocsparse_fill_mode_23rocsparse_storage_mode_P22rocsparse_data_status_.has_dyn_sized_stack, 0
	.set _ZN9rocsparseL23check_matrix_csr_deviceILj256ELj16EdiiEEvT3_S1_T2_PKT1_PKS2_PKS1_S9_21rocsparse_index_base_22rocsparse_matrix_type_20rocsparse_fill_mode_23rocsparse_storage_mode_P22rocsparse_data_status_.has_recursion, 0
	.set _ZN9rocsparseL23check_matrix_csr_deviceILj256ELj16EdiiEEvT3_S1_T2_PKT1_PKS2_PKS1_S9_21rocsparse_index_base_22rocsparse_matrix_type_20rocsparse_fill_mode_23rocsparse_storage_mode_P22rocsparse_data_status_.has_indirect_call, 0
	.section	.AMDGPU.csdata,"",@progbits
; Kernel info:
; codeLenInByte = 1000
; TotalNumSgprs: 31
; NumVgprs: 10
; ScratchSize: 0
; MemoryBound: 0
; FloatMode: 240
; IeeeMode: 1
; LDSByteSize: 0 bytes/workgroup (compile time only)
; SGPRBlocks: 0
; VGPRBlocks: 0
; NumSGPRsForWavesPerEU: 31
; NumVGPRsForWavesPerEU: 10
; NamedBarCnt: 0
; Occupancy: 16
; WaveLimiterHint : 0
; COMPUTE_PGM_RSRC2:SCRATCH_EN: 0
; COMPUTE_PGM_RSRC2:USER_SGPR: 2
; COMPUTE_PGM_RSRC2:TRAP_HANDLER: 0
; COMPUTE_PGM_RSRC2:TGID_X_EN: 1
; COMPUTE_PGM_RSRC2:TGID_Y_EN: 0
; COMPUTE_PGM_RSRC2:TGID_Z_EN: 0
; COMPUTE_PGM_RSRC2:TIDIG_COMP_CNT: 0
	.section	.text._ZN9rocsparseL23check_matrix_csr_deviceILj256ELj32EdiiEEvT3_S1_T2_PKT1_PKS2_PKS1_S9_21rocsparse_index_base_22rocsparse_matrix_type_20rocsparse_fill_mode_23rocsparse_storage_mode_P22rocsparse_data_status_,"axG",@progbits,_ZN9rocsparseL23check_matrix_csr_deviceILj256ELj32EdiiEEvT3_S1_T2_PKT1_PKS2_PKS1_S9_21rocsparse_index_base_22rocsparse_matrix_type_20rocsparse_fill_mode_23rocsparse_storage_mode_P22rocsparse_data_status_,comdat
	.globl	_ZN9rocsparseL23check_matrix_csr_deviceILj256ELj32EdiiEEvT3_S1_T2_PKT1_PKS2_PKS1_S9_21rocsparse_index_base_22rocsparse_matrix_type_20rocsparse_fill_mode_23rocsparse_storage_mode_P22rocsparse_data_status_ ; -- Begin function _ZN9rocsparseL23check_matrix_csr_deviceILj256ELj32EdiiEEvT3_S1_T2_PKT1_PKS2_PKS1_S9_21rocsparse_index_base_22rocsparse_matrix_type_20rocsparse_fill_mode_23rocsparse_storage_mode_P22rocsparse_data_status_
	.p2align	8
	.type	_ZN9rocsparseL23check_matrix_csr_deviceILj256ELj32EdiiEEvT3_S1_T2_PKT1_PKS2_PKS1_S9_21rocsparse_index_base_22rocsparse_matrix_type_20rocsparse_fill_mode_23rocsparse_storage_mode_P22rocsparse_data_status_,@function
_ZN9rocsparseL23check_matrix_csr_deviceILj256ELj32EdiiEEvT3_S1_T2_PKT1_PKS2_PKS1_S9_21rocsparse_index_base_22rocsparse_matrix_type_20rocsparse_fill_mode_23rocsparse_storage_mode_P22rocsparse_data_status_: ; @_ZN9rocsparseL23check_matrix_csr_deviceILj256ELj32EdiiEEvT3_S1_T2_PKT1_PKS2_PKS1_S9_21rocsparse_index_base_22rocsparse_matrix_type_20rocsparse_fill_mode_23rocsparse_storage_mode_P22rocsparse_data_status_
; %bb.0:
	s_bfe_u32 s2, ttmp6, 0x4000c
	s_load_b64 s[12:13], s[0:1], 0x0
	s_add_co_i32 s2, s2, 1
	s_and_b32 s3, ttmp6, 15
	s_mul_i32 s2, ttmp9, s2
	s_getreg_b32 s4, hwreg(HW_REG_IB_STS2, 6, 4)
	s_add_co_i32 s3, s3, s2
	s_cmp_eq_u32 s4, 0
	s_cselect_b32 s2, ttmp9, s3
	s_delay_alu instid0(SALU_CYCLE_1) | instskip(SKIP_1) | instid1(VALU_DEP_1)
	v_lshl_or_b32 v1, s2, 8, v0
	s_mov_b32 s2, exec_lo
	v_lshrrev_b32_e32 v4, 5, v1
	s_wait_kmcnt 0x0
	s_delay_alu instid0(VALU_DEP_1)
	v_cmpx_gt_i32_e64 s12, v4
	s_cbranch_execz .LBB12_31
; %bb.1:
	s_load_b64 s[2:3], s[0:1], 0x18
	v_dual_lshlrev_b32 v1, 2, v4 :: v_dual_mov_b32 v7, 3
	s_wait_kmcnt 0x0
	global_load_b64 v[2:3], v1, s[2:3]
	s_wait_xcnt 0x0
	s_load_b32 s2, s[2:3], 0x0
	s_wait_loadcnt 0x0
	s_wait_kmcnt 0x0
	v_subrev_nc_u32_e32 v5, s2, v3
	v_subrev_nc_u32_e32 v6, s2, v2
	v_cmp_lt_i32_e64 s2, v3, v2
	s_delay_alu instid0(VALU_DEP_3) | instskip(NEXT) | instid1(VALU_DEP_3)
	v_cmp_gt_i32_e32 vcc_lo, 0, v5
	v_cmp_lt_i32_e64 s3, -1, v6
	s_or_b32 s2, vcc_lo, s2
	s_delay_alu instid0(SALU_CYCLE_1) | instskip(SKIP_2) | instid1(SALU_CYCLE_1)
	s_xor_b32 s4, s2, -1
	s_mov_b32 s2, -1
	s_and_b32 s3, s3, s4
	s_and_saveexec_b32 s12, s3
	s_cbranch_execz .LBB12_29
; %bb.2:
	v_dual_mov_b32 v7, 3 :: v_dual_bitop2_b32 v0, 31, v0 bitop3:0x40
	s_mov_b32 s2, 0
	s_mov_b32 s16, exec_lo
	s_delay_alu instid0(VALU_DEP_1) | instskip(NEXT) | instid1(VALU_DEP_1)
	v_add_nc_u32_e32 v0, v6, v0
	v_cmpx_lt_u32_e64 v0, v5
	s_cbranch_execz .LBB12_28
; %bb.3:
	s_clause 0x1
	s_load_b256 s[4:11], s[0:1], 0x20
	s_load_b64 s[14:15], s[0:1], 0x10
                                        ; implicit-def: $sgpr18
                                        ; implicit-def: $sgpr19
                                        ; implicit-def: $sgpr20
	s_wait_kmcnt 0x0
	s_cmp_lg_u32 s9, 0
	s_cselect_b32 s9, -1, 0
	s_cmp_lg_u32 s10, 0
	s_cselect_b32 s10, -1, 0
	s_cmp_lg_u32 s11, 0
	s_mov_b32 s11, 0
	s_cselect_b32 s17, -1, 0
	s_branch .LBB12_10
.LBB12_4:                               ;   in Loop: Header=BB12_10 Depth=1
	s_or_b32 exec_lo, exec_lo, s27
	s_delay_alu instid0(SALU_CYCLE_1)
	s_or_not1_b32 s28, s3, exec_lo
	s_or_not1_b32 s2, s25, exec_lo
.LBB12_5:                               ;   in Loop: Header=BB12_10 Depth=1
	s_or_b32 exec_lo, exec_lo, s26
	s_delay_alu instid0(SALU_CYCLE_1)
	s_or_not1_b32 s3, s28, exec_lo
	s_or_not1_b32 s2, s2, exec_lo
.LBB12_6:                               ;   in Loop: Header=BB12_10 Depth=1
	s_or_b32 exec_lo, exec_lo, s24
	s_delay_alu instid0(SALU_CYCLE_1)
	s_or_not1_b32 s3, s3, exec_lo
	s_or_not1_b32 s2, s2, exec_lo
.LBB12_7:                               ;   in Loop: Header=BB12_10 Depth=1
	s_or_b32 exec_lo, exec_lo, s23
	s_delay_alu instid0(SALU_CYCLE_1)
	s_or_not1_b32 s3, s3, exec_lo
	s_or_not1_b32 s2, s2, exec_lo
.LBB12_8:                               ;   in Loop: Header=BB12_10 Depth=1
	s_or_b32 exec_lo, exec_lo, s22
	s_delay_alu instid0(SALU_CYCLE_1)
	s_and_not1_b32 s20, s20, exec_lo
	s_and_b32 s3, s3, exec_lo
	s_and_not1_b32 s19, s19, exec_lo
	s_and_b32 s2, s2, exec_lo
	s_or_b32 s20, s20, s3
	s_or_b32 s19, s19, s2
.LBB12_9:                               ;   in Loop: Header=BB12_10 Depth=1
	s_or_b32 exec_lo, exec_lo, s21
	s_delay_alu instid0(SALU_CYCLE_1) | instskip(NEXT) | instid1(SALU_CYCLE_1)
	s_and_b32 s2, exec_lo, s19
	s_or_b32 s11, s2, s11
	s_and_not1_b32 s2, s18, exec_lo
	s_and_b32 s3, s20, exec_lo
	s_delay_alu instid0(SALU_CYCLE_1)
	s_or_b32 s18, s2, s3
	s_and_not1_b32 exec_lo, exec_lo, s11
	s_cbranch_execz .LBB12_27
.LBB12_10:                              ; =>This Inner Loop Header: Depth=1
	global_load_b32 v8, v0, s[4:5] scale_offset
	v_mov_b32_e32 v7, 4
	s_or_b32 s20, s20, exec_lo
	s_or_b32 s19, s19, exec_lo
	s_wait_loadcnt 0x0
	v_subrev_nc_u32_e32 v9, s8, v8
	s_delay_alu instid0(VALU_DEP_1) | instskip(SKIP_2) | instid1(SALU_CYCLE_1)
	v_cmp_lt_i32_e32 vcc_lo, -1, v9
	v_cmp_gt_i32_e64 s2, s13, v9
	s_and_b32 s2, vcc_lo, s2
	s_and_saveexec_b32 s21, s2
	s_cbranch_execz .LBB12_9
; %bb.11:                               ;   in Loop: Header=BB12_10 Depth=1
	v_cmp_le_i32_e64 s25, v0, v6
	v_dual_ashrrev_i32 v1, 31, v0 :: v_dual_mov_b32 v7, 4
	s_mov_b32 s22, exec_lo
	s_mov_b32 s23, s25
	v_cmpx_gt_i32_e64 v0, v6
	s_cbranch_execz .LBB12_13
; %bb.12:                               ;   in Loop: Header=BB12_10 Depth=1
	v_lshl_add_u64 v[2:3], v[0:1], 2, s[6:7]
	global_load_b64 v[2:3], v[2:3], off offset:-4
	s_wait_loadcnt 0x0
	v_subrev_nc_u32_e32 v7, s8, v2
	v_cmp_ne_u32_e64 s3, v3, v2
	s_delay_alu instid0(VALU_DEP_2) | instskip(SKIP_3) | instid1(SALU_CYCLE_1)
	v_cmp_lt_i32_e32 vcc_lo, -1, v7
	v_cmp_gt_i32_e64 s2, s13, v7
	v_mov_b32_e32 v7, 5
	s_and_b32 s2, vcc_lo, s2
	s_xor_b32 s2, s2, -1
	s_delay_alu instid0(SALU_CYCLE_1) | instskip(SKIP_2) | instid1(SALU_CYCLE_1)
	s_or_b32 s2, s3, s2
	s_and_not1_b32 s3, s25, exec_lo
	s_and_b32 s2, s2, exec_lo
	s_or_b32 s23, s3, s2
.LBB12_13:                              ;   in Loop: Header=BB12_10 Depth=1
	s_or_b32 exec_lo, exec_lo, s22
	s_mov_b32 s2, -1
	s_mov_b32 s3, -1
	s_and_saveexec_b32 s22, s23
	s_cbranch_execz .LBB12_8
; %bb.14:                               ;   in Loop: Header=BB12_10 Depth=1
	v_lshl_add_u64 v[2:3], v[0:1], 3, s[14:15]
	v_mov_b32_e32 v7, 1
	s_mov_b32 s23, exec_lo
	global_load_b64 v[2:3], v[2:3], off
	s_wait_loadcnt 0x0
	v_cmpx_neq_f64_e32 0x7ff00000, v[2:3]
	s_cbranch_execz .LBB12_7
; %bb.15:                               ;   in Loop: Header=BB12_10 Depth=1
	v_mov_b32_e32 v7, 2
	s_mov_b32 s24, exec_lo
	v_cmpx_o_f64_e32 v[2:3], v[2:3]
	s_cbranch_execz .LBB12_6
; %bb.16:                               ;   in Loop: Header=BB12_10 Depth=1
	s_and_b32 vcc_lo, exec_lo, s9
	s_cbranch_vccz .LBB12_19
; %bb.17:                               ;   in Loop: Header=BB12_10 Depth=1
	s_and_b32 vcc_lo, exec_lo, s10
	s_cbranch_vccz .LBB12_20
; %bb.18:                               ;   in Loop: Header=BB12_10 Depth=1
	v_cmp_le_i32_e32 vcc_lo, v4, v9
	s_mov_b32 s3, 7
	s_and_b32 s27, vcc_lo, exec_lo
	s_cbranch_execz .LBB12_21
	s_branch .LBB12_22
.LBB12_19:                              ;   in Loop: Header=BB12_10 Depth=1
	s_mov_b32 s3, 2
	s_mov_b32 s27, -1
	s_branch .LBB12_22
.LBB12_20:                              ;   in Loop: Header=BB12_10 Depth=1
	s_mov_b32 s27, 0
	s_mov_b32 s3, 2
.LBB12_21:                              ;   in Loop: Header=BB12_10 Depth=1
	v_cmp_ge_i32_e32 vcc_lo, v4, v9
	s_and_not1_b32 s26, s27, exec_lo
	s_mov_b32 s3, 7
	s_and_b32 s27, vcc_lo, exec_lo
	s_delay_alu instid0(SALU_CYCLE_1)
	s_or_b32 s27, s26, s27
.LBB12_22:                              ;   in Loop: Header=BB12_10 Depth=1
	v_mov_b32_e32 v7, s3
	s_mov_b32 s28, -1
	s_and_saveexec_b32 s26, s27
	s_cbranch_execz .LBB12_5
; %bb.23:                               ;   in Loop: Header=BB12_10 Depth=1
	v_mov_b32_e32 v7, s3
	s_nor_b32 s3, s17, s25
	s_mov_b32 s25, -1
	s_and_saveexec_b32 s27, s3
	s_cbranch_execz .LBB12_25
; %bb.24:                               ;   in Loop: Header=BB12_10 Depth=1
	v_lshl_add_u64 v[2:3], v[0:1], 2, s[4:5]
	v_mov_b32_e32 v7, 6
	global_load_b32 v1, v[2:3], off offset:-4
	s_wait_loadcnt 0x0
	v_subrev_nc_u32_e32 v2, s8, v1
	v_cmp_gt_i32_e64 s3, v8, v1
	s_delay_alu instid0(VALU_DEP_2) | instskip(SKIP_2) | instid1(SALU_CYCLE_1)
	v_cmp_lt_i32_e32 vcc_lo, -1, v2
	v_cmp_gt_i32_e64 s2, s13, v2
	s_and_b32 s2, vcc_lo, s2
	s_xor_b32 s2, s2, -1
	s_delay_alu instid0(SALU_CYCLE_1) | instskip(NEXT) | instid1(SALU_CYCLE_1)
	s_or_b32 s2, s3, s2
	s_or_not1_b32 s2, s2, exec_lo
.LBB12_25:                              ;   in Loop: Header=BB12_10 Depth=1
	s_or_b32 exec_lo, exec_lo, s27
	s_mov_b32 s3, -1
	s_and_saveexec_b32 s27, s2
	s_cbranch_execz .LBB12_4
; %bb.26:                               ;   in Loop: Header=BB12_10 Depth=1
	v_add_nc_u32_e32 v0, 32, v0
	s_xor_b32 s3, exec_lo, -1
	s_delay_alu instid0(VALU_DEP_1)
	v_cmp_ge_i32_e32 vcc_lo, v0, v5
	s_or_not1_b32 s25, vcc_lo, exec_lo
	s_branch .LBB12_4
.LBB12_27:
	s_or_b32 exec_lo, exec_lo, s11
	s_delay_alu instid0(SALU_CYCLE_1)
	s_and_b32 s2, s18, exec_lo
.LBB12_28:
	s_or_b32 exec_lo, exec_lo, s16
	s_delay_alu instid0(SALU_CYCLE_1)
	s_or_not1_b32 s2, s2, exec_lo
.LBB12_29:
	s_or_b32 exec_lo, exec_lo, s12
	s_delay_alu instid0(SALU_CYCLE_1)
	s_and_b32 exec_lo, exec_lo, s2
	s_cbranch_execz .LBB12_31
; %bb.30:
	s_load_b64 s[0:1], s[0:1], 0x40
	v_mov_b32_e32 v0, 0
	s_wait_kmcnt 0x0
	global_store_b32 v0, v7, s[0:1]
.LBB12_31:
	s_endpgm
	.section	.rodata,"a",@progbits
	.p2align	6, 0x0
	.amdhsa_kernel _ZN9rocsparseL23check_matrix_csr_deviceILj256ELj32EdiiEEvT3_S1_T2_PKT1_PKS2_PKS1_S9_21rocsparse_index_base_22rocsparse_matrix_type_20rocsparse_fill_mode_23rocsparse_storage_mode_P22rocsparse_data_status_
		.amdhsa_group_segment_fixed_size 0
		.amdhsa_private_segment_fixed_size 0
		.amdhsa_kernarg_size 72
		.amdhsa_user_sgpr_count 2
		.amdhsa_user_sgpr_dispatch_ptr 0
		.amdhsa_user_sgpr_queue_ptr 0
		.amdhsa_user_sgpr_kernarg_segment_ptr 1
		.amdhsa_user_sgpr_dispatch_id 0
		.amdhsa_user_sgpr_kernarg_preload_length 0
		.amdhsa_user_sgpr_kernarg_preload_offset 0
		.amdhsa_user_sgpr_private_segment_size 0
		.amdhsa_wavefront_size32 1
		.amdhsa_uses_dynamic_stack 0
		.amdhsa_enable_private_segment 0
		.amdhsa_system_sgpr_workgroup_id_x 1
		.amdhsa_system_sgpr_workgroup_id_y 0
		.amdhsa_system_sgpr_workgroup_id_z 0
		.amdhsa_system_sgpr_workgroup_info 0
		.amdhsa_system_vgpr_workitem_id 0
		.amdhsa_next_free_vgpr 10
		.amdhsa_next_free_sgpr 29
		.amdhsa_named_barrier_count 0
		.amdhsa_reserve_vcc 1
		.amdhsa_float_round_mode_32 0
		.amdhsa_float_round_mode_16_64 0
		.amdhsa_float_denorm_mode_32 3
		.amdhsa_float_denorm_mode_16_64 3
		.amdhsa_fp16_overflow 0
		.amdhsa_memory_ordered 1
		.amdhsa_forward_progress 1
		.amdhsa_inst_pref_size 8
		.amdhsa_round_robin_scheduling 0
		.amdhsa_exception_fp_ieee_invalid_op 0
		.amdhsa_exception_fp_denorm_src 0
		.amdhsa_exception_fp_ieee_div_zero 0
		.amdhsa_exception_fp_ieee_overflow 0
		.amdhsa_exception_fp_ieee_underflow 0
		.amdhsa_exception_fp_ieee_inexact 0
		.amdhsa_exception_int_div_zero 0
	.end_amdhsa_kernel
	.section	.text._ZN9rocsparseL23check_matrix_csr_deviceILj256ELj32EdiiEEvT3_S1_T2_PKT1_PKS2_PKS1_S9_21rocsparse_index_base_22rocsparse_matrix_type_20rocsparse_fill_mode_23rocsparse_storage_mode_P22rocsparse_data_status_,"axG",@progbits,_ZN9rocsparseL23check_matrix_csr_deviceILj256ELj32EdiiEEvT3_S1_T2_PKT1_PKS2_PKS1_S9_21rocsparse_index_base_22rocsparse_matrix_type_20rocsparse_fill_mode_23rocsparse_storage_mode_P22rocsparse_data_status_,comdat
.Lfunc_end12:
	.size	_ZN9rocsparseL23check_matrix_csr_deviceILj256ELj32EdiiEEvT3_S1_T2_PKT1_PKS2_PKS1_S9_21rocsparse_index_base_22rocsparse_matrix_type_20rocsparse_fill_mode_23rocsparse_storage_mode_P22rocsparse_data_status_, .Lfunc_end12-_ZN9rocsparseL23check_matrix_csr_deviceILj256ELj32EdiiEEvT3_S1_T2_PKT1_PKS2_PKS1_S9_21rocsparse_index_base_22rocsparse_matrix_type_20rocsparse_fill_mode_23rocsparse_storage_mode_P22rocsparse_data_status_
                                        ; -- End function
	.set _ZN9rocsparseL23check_matrix_csr_deviceILj256ELj32EdiiEEvT3_S1_T2_PKT1_PKS2_PKS1_S9_21rocsparse_index_base_22rocsparse_matrix_type_20rocsparse_fill_mode_23rocsparse_storage_mode_P22rocsparse_data_status_.num_vgpr, 10
	.set _ZN9rocsparseL23check_matrix_csr_deviceILj256ELj32EdiiEEvT3_S1_T2_PKT1_PKS2_PKS1_S9_21rocsparse_index_base_22rocsparse_matrix_type_20rocsparse_fill_mode_23rocsparse_storage_mode_P22rocsparse_data_status_.num_agpr, 0
	.set _ZN9rocsparseL23check_matrix_csr_deviceILj256ELj32EdiiEEvT3_S1_T2_PKT1_PKS2_PKS1_S9_21rocsparse_index_base_22rocsparse_matrix_type_20rocsparse_fill_mode_23rocsparse_storage_mode_P22rocsparse_data_status_.numbered_sgpr, 29
	.set _ZN9rocsparseL23check_matrix_csr_deviceILj256ELj32EdiiEEvT3_S1_T2_PKT1_PKS2_PKS1_S9_21rocsparse_index_base_22rocsparse_matrix_type_20rocsparse_fill_mode_23rocsparse_storage_mode_P22rocsparse_data_status_.num_named_barrier, 0
	.set _ZN9rocsparseL23check_matrix_csr_deviceILj256ELj32EdiiEEvT3_S1_T2_PKT1_PKS2_PKS1_S9_21rocsparse_index_base_22rocsparse_matrix_type_20rocsparse_fill_mode_23rocsparse_storage_mode_P22rocsparse_data_status_.private_seg_size, 0
	.set _ZN9rocsparseL23check_matrix_csr_deviceILj256ELj32EdiiEEvT3_S1_T2_PKT1_PKS2_PKS1_S9_21rocsparse_index_base_22rocsparse_matrix_type_20rocsparse_fill_mode_23rocsparse_storage_mode_P22rocsparse_data_status_.uses_vcc, 1
	.set _ZN9rocsparseL23check_matrix_csr_deviceILj256ELj32EdiiEEvT3_S1_T2_PKT1_PKS2_PKS1_S9_21rocsparse_index_base_22rocsparse_matrix_type_20rocsparse_fill_mode_23rocsparse_storage_mode_P22rocsparse_data_status_.uses_flat_scratch, 0
	.set _ZN9rocsparseL23check_matrix_csr_deviceILj256ELj32EdiiEEvT3_S1_T2_PKT1_PKS2_PKS1_S9_21rocsparse_index_base_22rocsparse_matrix_type_20rocsparse_fill_mode_23rocsparse_storage_mode_P22rocsparse_data_status_.has_dyn_sized_stack, 0
	.set _ZN9rocsparseL23check_matrix_csr_deviceILj256ELj32EdiiEEvT3_S1_T2_PKT1_PKS2_PKS1_S9_21rocsparse_index_base_22rocsparse_matrix_type_20rocsparse_fill_mode_23rocsparse_storage_mode_P22rocsparse_data_status_.has_recursion, 0
	.set _ZN9rocsparseL23check_matrix_csr_deviceILj256ELj32EdiiEEvT3_S1_T2_PKT1_PKS2_PKS1_S9_21rocsparse_index_base_22rocsparse_matrix_type_20rocsparse_fill_mode_23rocsparse_storage_mode_P22rocsparse_data_status_.has_indirect_call, 0
	.section	.AMDGPU.csdata,"",@progbits
; Kernel info:
; codeLenInByte = 1000
; TotalNumSgprs: 31
; NumVgprs: 10
; ScratchSize: 0
; MemoryBound: 0
; FloatMode: 240
; IeeeMode: 1
; LDSByteSize: 0 bytes/workgroup (compile time only)
; SGPRBlocks: 0
; VGPRBlocks: 0
; NumSGPRsForWavesPerEU: 31
; NumVGPRsForWavesPerEU: 10
; NamedBarCnt: 0
; Occupancy: 16
; WaveLimiterHint : 0
; COMPUTE_PGM_RSRC2:SCRATCH_EN: 0
; COMPUTE_PGM_RSRC2:USER_SGPR: 2
; COMPUTE_PGM_RSRC2:TRAP_HANDLER: 0
; COMPUTE_PGM_RSRC2:TGID_X_EN: 1
; COMPUTE_PGM_RSRC2:TGID_Y_EN: 0
; COMPUTE_PGM_RSRC2:TGID_Z_EN: 0
; COMPUTE_PGM_RSRC2:TIDIG_COMP_CNT: 0
	.section	.text._ZN9rocsparseL23check_matrix_csr_deviceILj256ELj64EdiiEEvT3_S1_T2_PKT1_PKS2_PKS1_S9_21rocsparse_index_base_22rocsparse_matrix_type_20rocsparse_fill_mode_23rocsparse_storage_mode_P22rocsparse_data_status_,"axG",@progbits,_ZN9rocsparseL23check_matrix_csr_deviceILj256ELj64EdiiEEvT3_S1_T2_PKT1_PKS2_PKS1_S9_21rocsparse_index_base_22rocsparse_matrix_type_20rocsparse_fill_mode_23rocsparse_storage_mode_P22rocsparse_data_status_,comdat
	.globl	_ZN9rocsparseL23check_matrix_csr_deviceILj256ELj64EdiiEEvT3_S1_T2_PKT1_PKS2_PKS1_S9_21rocsparse_index_base_22rocsparse_matrix_type_20rocsparse_fill_mode_23rocsparse_storage_mode_P22rocsparse_data_status_ ; -- Begin function _ZN9rocsparseL23check_matrix_csr_deviceILj256ELj64EdiiEEvT3_S1_T2_PKT1_PKS2_PKS1_S9_21rocsparse_index_base_22rocsparse_matrix_type_20rocsparse_fill_mode_23rocsparse_storage_mode_P22rocsparse_data_status_
	.p2align	8
	.type	_ZN9rocsparseL23check_matrix_csr_deviceILj256ELj64EdiiEEvT3_S1_T2_PKT1_PKS2_PKS1_S9_21rocsparse_index_base_22rocsparse_matrix_type_20rocsparse_fill_mode_23rocsparse_storage_mode_P22rocsparse_data_status_,@function
_ZN9rocsparseL23check_matrix_csr_deviceILj256ELj64EdiiEEvT3_S1_T2_PKT1_PKS2_PKS1_S9_21rocsparse_index_base_22rocsparse_matrix_type_20rocsparse_fill_mode_23rocsparse_storage_mode_P22rocsparse_data_status_: ; @_ZN9rocsparseL23check_matrix_csr_deviceILj256ELj64EdiiEEvT3_S1_T2_PKT1_PKS2_PKS1_S9_21rocsparse_index_base_22rocsparse_matrix_type_20rocsparse_fill_mode_23rocsparse_storage_mode_P22rocsparse_data_status_
; %bb.0:
	s_bfe_u32 s2, ttmp6, 0x4000c
	s_load_b64 s[12:13], s[0:1], 0x0
	s_add_co_i32 s2, s2, 1
	s_and_b32 s3, ttmp6, 15
	s_mul_i32 s2, ttmp9, s2
	s_getreg_b32 s4, hwreg(HW_REG_IB_STS2, 6, 4)
	s_add_co_i32 s3, s3, s2
	s_cmp_eq_u32 s4, 0
	s_cselect_b32 s2, ttmp9, s3
	s_delay_alu instid0(SALU_CYCLE_1) | instskip(SKIP_1) | instid1(VALU_DEP_1)
	v_lshl_or_b32 v1, s2, 8, v0
	s_mov_b32 s2, exec_lo
	v_lshrrev_b32_e32 v4, 6, v1
	s_wait_kmcnt 0x0
	s_delay_alu instid0(VALU_DEP_1)
	v_cmpx_gt_i32_e64 s12, v4
	s_cbranch_execz .LBB13_31
; %bb.1:
	s_load_b64 s[2:3], s[0:1], 0x18
	v_dual_lshlrev_b32 v1, 2, v4 :: v_dual_mov_b32 v7, 3
	s_wait_kmcnt 0x0
	global_load_b64 v[2:3], v1, s[2:3]
	s_wait_xcnt 0x0
	s_load_b32 s2, s[2:3], 0x0
	s_wait_loadcnt 0x0
	s_wait_kmcnt 0x0
	v_subrev_nc_u32_e32 v5, s2, v3
	v_subrev_nc_u32_e32 v6, s2, v2
	v_cmp_lt_i32_e64 s2, v3, v2
	s_delay_alu instid0(VALU_DEP_3) | instskip(NEXT) | instid1(VALU_DEP_3)
	v_cmp_gt_i32_e32 vcc_lo, 0, v5
	v_cmp_lt_i32_e64 s3, -1, v6
	s_or_b32 s2, vcc_lo, s2
	s_delay_alu instid0(SALU_CYCLE_1) | instskip(SKIP_2) | instid1(SALU_CYCLE_1)
	s_xor_b32 s4, s2, -1
	s_mov_b32 s2, -1
	s_and_b32 s3, s3, s4
	s_and_saveexec_b32 s12, s3
	s_cbranch_execz .LBB13_29
; %bb.2:
	v_dual_mov_b32 v7, 3 :: v_dual_bitop2_b32 v0, 63, v0 bitop3:0x40
	s_mov_b32 s2, 0
	s_mov_b32 s16, exec_lo
	s_delay_alu instid0(VALU_DEP_1) | instskip(NEXT) | instid1(VALU_DEP_1)
	v_add_nc_u32_e32 v0, v6, v0
	v_cmpx_lt_u32_e64 v0, v5
	s_cbranch_execz .LBB13_28
; %bb.3:
	s_clause 0x1
	s_load_b256 s[4:11], s[0:1], 0x20
	s_load_b64 s[14:15], s[0:1], 0x10
                                        ; implicit-def: $sgpr18
                                        ; implicit-def: $sgpr19
                                        ; implicit-def: $sgpr20
	s_wait_kmcnt 0x0
	s_cmp_lg_u32 s9, 0
	s_cselect_b32 s9, -1, 0
	s_cmp_lg_u32 s10, 0
	s_cselect_b32 s10, -1, 0
	s_cmp_lg_u32 s11, 0
	s_mov_b32 s11, 0
	s_cselect_b32 s17, -1, 0
	s_branch .LBB13_10
.LBB13_4:                               ;   in Loop: Header=BB13_10 Depth=1
	s_or_b32 exec_lo, exec_lo, s27
	s_delay_alu instid0(SALU_CYCLE_1)
	s_or_not1_b32 s28, s3, exec_lo
	s_or_not1_b32 s2, s25, exec_lo
.LBB13_5:                               ;   in Loop: Header=BB13_10 Depth=1
	s_or_b32 exec_lo, exec_lo, s26
	s_delay_alu instid0(SALU_CYCLE_1)
	s_or_not1_b32 s3, s28, exec_lo
	s_or_not1_b32 s2, s2, exec_lo
.LBB13_6:                               ;   in Loop: Header=BB13_10 Depth=1
	s_or_b32 exec_lo, exec_lo, s24
	s_delay_alu instid0(SALU_CYCLE_1)
	s_or_not1_b32 s3, s3, exec_lo
	s_or_not1_b32 s2, s2, exec_lo
.LBB13_7:                               ;   in Loop: Header=BB13_10 Depth=1
	s_or_b32 exec_lo, exec_lo, s23
	s_delay_alu instid0(SALU_CYCLE_1)
	s_or_not1_b32 s3, s3, exec_lo
	s_or_not1_b32 s2, s2, exec_lo
.LBB13_8:                               ;   in Loop: Header=BB13_10 Depth=1
	s_or_b32 exec_lo, exec_lo, s22
	s_delay_alu instid0(SALU_CYCLE_1)
	s_and_not1_b32 s20, s20, exec_lo
	s_and_b32 s3, s3, exec_lo
	s_and_not1_b32 s19, s19, exec_lo
	s_and_b32 s2, s2, exec_lo
	s_or_b32 s20, s20, s3
	s_or_b32 s19, s19, s2
.LBB13_9:                               ;   in Loop: Header=BB13_10 Depth=1
	s_or_b32 exec_lo, exec_lo, s21
	s_delay_alu instid0(SALU_CYCLE_1) | instskip(NEXT) | instid1(SALU_CYCLE_1)
	s_and_b32 s2, exec_lo, s19
	s_or_b32 s11, s2, s11
	s_and_not1_b32 s2, s18, exec_lo
	s_and_b32 s3, s20, exec_lo
	s_delay_alu instid0(SALU_CYCLE_1)
	s_or_b32 s18, s2, s3
	s_and_not1_b32 exec_lo, exec_lo, s11
	s_cbranch_execz .LBB13_27
.LBB13_10:                              ; =>This Inner Loop Header: Depth=1
	global_load_b32 v8, v0, s[4:5] scale_offset
	v_mov_b32_e32 v7, 4
	s_or_b32 s20, s20, exec_lo
	s_or_b32 s19, s19, exec_lo
	s_wait_loadcnt 0x0
	v_subrev_nc_u32_e32 v9, s8, v8
	s_delay_alu instid0(VALU_DEP_1) | instskip(SKIP_2) | instid1(SALU_CYCLE_1)
	v_cmp_lt_i32_e32 vcc_lo, -1, v9
	v_cmp_gt_i32_e64 s2, s13, v9
	s_and_b32 s2, vcc_lo, s2
	s_and_saveexec_b32 s21, s2
	s_cbranch_execz .LBB13_9
; %bb.11:                               ;   in Loop: Header=BB13_10 Depth=1
	v_cmp_le_i32_e64 s25, v0, v6
	v_dual_ashrrev_i32 v1, 31, v0 :: v_dual_mov_b32 v7, 4
	s_mov_b32 s22, exec_lo
	s_mov_b32 s23, s25
	v_cmpx_gt_i32_e64 v0, v6
	s_cbranch_execz .LBB13_13
; %bb.12:                               ;   in Loop: Header=BB13_10 Depth=1
	v_lshl_add_u64 v[2:3], v[0:1], 2, s[6:7]
	global_load_b64 v[2:3], v[2:3], off offset:-4
	s_wait_loadcnt 0x0
	v_subrev_nc_u32_e32 v7, s8, v2
	v_cmp_ne_u32_e64 s3, v3, v2
	s_delay_alu instid0(VALU_DEP_2) | instskip(SKIP_3) | instid1(SALU_CYCLE_1)
	v_cmp_lt_i32_e32 vcc_lo, -1, v7
	v_cmp_gt_i32_e64 s2, s13, v7
	v_mov_b32_e32 v7, 5
	s_and_b32 s2, vcc_lo, s2
	s_xor_b32 s2, s2, -1
	s_delay_alu instid0(SALU_CYCLE_1) | instskip(SKIP_2) | instid1(SALU_CYCLE_1)
	s_or_b32 s2, s3, s2
	s_and_not1_b32 s3, s25, exec_lo
	s_and_b32 s2, s2, exec_lo
	s_or_b32 s23, s3, s2
.LBB13_13:                              ;   in Loop: Header=BB13_10 Depth=1
	s_or_b32 exec_lo, exec_lo, s22
	s_mov_b32 s2, -1
	s_mov_b32 s3, -1
	s_and_saveexec_b32 s22, s23
	s_cbranch_execz .LBB13_8
; %bb.14:                               ;   in Loop: Header=BB13_10 Depth=1
	v_lshl_add_u64 v[2:3], v[0:1], 3, s[14:15]
	v_mov_b32_e32 v7, 1
	s_mov_b32 s23, exec_lo
	global_load_b64 v[2:3], v[2:3], off
	s_wait_loadcnt 0x0
	v_cmpx_neq_f64_e32 0x7ff00000, v[2:3]
	s_cbranch_execz .LBB13_7
; %bb.15:                               ;   in Loop: Header=BB13_10 Depth=1
	v_mov_b32_e32 v7, 2
	s_mov_b32 s24, exec_lo
	v_cmpx_o_f64_e32 v[2:3], v[2:3]
	s_cbranch_execz .LBB13_6
; %bb.16:                               ;   in Loop: Header=BB13_10 Depth=1
	s_and_b32 vcc_lo, exec_lo, s9
	s_cbranch_vccz .LBB13_19
; %bb.17:                               ;   in Loop: Header=BB13_10 Depth=1
	s_and_b32 vcc_lo, exec_lo, s10
	s_cbranch_vccz .LBB13_20
; %bb.18:                               ;   in Loop: Header=BB13_10 Depth=1
	v_cmp_le_i32_e32 vcc_lo, v4, v9
	s_mov_b32 s3, 7
	s_and_b32 s27, vcc_lo, exec_lo
	s_cbranch_execz .LBB13_21
	s_branch .LBB13_22
.LBB13_19:                              ;   in Loop: Header=BB13_10 Depth=1
	s_mov_b32 s3, 2
	s_mov_b32 s27, -1
	s_branch .LBB13_22
.LBB13_20:                              ;   in Loop: Header=BB13_10 Depth=1
	s_mov_b32 s27, 0
	s_mov_b32 s3, 2
.LBB13_21:                              ;   in Loop: Header=BB13_10 Depth=1
	v_cmp_ge_i32_e32 vcc_lo, v4, v9
	s_and_not1_b32 s26, s27, exec_lo
	s_mov_b32 s3, 7
	s_and_b32 s27, vcc_lo, exec_lo
	s_delay_alu instid0(SALU_CYCLE_1)
	s_or_b32 s27, s26, s27
.LBB13_22:                              ;   in Loop: Header=BB13_10 Depth=1
	v_mov_b32_e32 v7, s3
	s_mov_b32 s28, -1
	s_and_saveexec_b32 s26, s27
	s_cbranch_execz .LBB13_5
; %bb.23:                               ;   in Loop: Header=BB13_10 Depth=1
	v_mov_b32_e32 v7, s3
	s_nor_b32 s3, s17, s25
	s_mov_b32 s25, -1
	s_and_saveexec_b32 s27, s3
	s_cbranch_execz .LBB13_25
; %bb.24:                               ;   in Loop: Header=BB13_10 Depth=1
	v_lshl_add_u64 v[2:3], v[0:1], 2, s[4:5]
	v_mov_b32_e32 v7, 6
	global_load_b32 v1, v[2:3], off offset:-4
	s_wait_loadcnt 0x0
	v_subrev_nc_u32_e32 v2, s8, v1
	v_cmp_gt_i32_e64 s3, v8, v1
	s_delay_alu instid0(VALU_DEP_2) | instskip(SKIP_2) | instid1(SALU_CYCLE_1)
	v_cmp_lt_i32_e32 vcc_lo, -1, v2
	v_cmp_gt_i32_e64 s2, s13, v2
	s_and_b32 s2, vcc_lo, s2
	s_xor_b32 s2, s2, -1
	s_delay_alu instid0(SALU_CYCLE_1) | instskip(NEXT) | instid1(SALU_CYCLE_1)
	s_or_b32 s2, s3, s2
	s_or_not1_b32 s2, s2, exec_lo
.LBB13_25:                              ;   in Loop: Header=BB13_10 Depth=1
	s_or_b32 exec_lo, exec_lo, s27
	s_mov_b32 s3, -1
	s_and_saveexec_b32 s27, s2
	s_cbranch_execz .LBB13_4
; %bb.26:                               ;   in Loop: Header=BB13_10 Depth=1
	v_add_nc_u32_e32 v0, 64, v0
	s_xor_b32 s3, exec_lo, -1
	s_delay_alu instid0(VALU_DEP_1)
	v_cmp_ge_i32_e32 vcc_lo, v0, v5
	s_or_not1_b32 s25, vcc_lo, exec_lo
	s_branch .LBB13_4
.LBB13_27:
	s_or_b32 exec_lo, exec_lo, s11
	s_delay_alu instid0(SALU_CYCLE_1)
	s_and_b32 s2, s18, exec_lo
.LBB13_28:
	s_or_b32 exec_lo, exec_lo, s16
	s_delay_alu instid0(SALU_CYCLE_1)
	s_or_not1_b32 s2, s2, exec_lo
.LBB13_29:
	s_or_b32 exec_lo, exec_lo, s12
	s_delay_alu instid0(SALU_CYCLE_1)
	s_and_b32 exec_lo, exec_lo, s2
	s_cbranch_execz .LBB13_31
; %bb.30:
	s_load_b64 s[0:1], s[0:1], 0x40
	v_mov_b32_e32 v0, 0
	s_wait_kmcnt 0x0
	global_store_b32 v0, v7, s[0:1]
.LBB13_31:
	s_endpgm
	.section	.rodata,"a",@progbits
	.p2align	6, 0x0
	.amdhsa_kernel _ZN9rocsparseL23check_matrix_csr_deviceILj256ELj64EdiiEEvT3_S1_T2_PKT1_PKS2_PKS1_S9_21rocsparse_index_base_22rocsparse_matrix_type_20rocsparse_fill_mode_23rocsparse_storage_mode_P22rocsparse_data_status_
		.amdhsa_group_segment_fixed_size 0
		.amdhsa_private_segment_fixed_size 0
		.amdhsa_kernarg_size 72
		.amdhsa_user_sgpr_count 2
		.amdhsa_user_sgpr_dispatch_ptr 0
		.amdhsa_user_sgpr_queue_ptr 0
		.amdhsa_user_sgpr_kernarg_segment_ptr 1
		.amdhsa_user_sgpr_dispatch_id 0
		.amdhsa_user_sgpr_kernarg_preload_length 0
		.amdhsa_user_sgpr_kernarg_preload_offset 0
		.amdhsa_user_sgpr_private_segment_size 0
		.amdhsa_wavefront_size32 1
		.amdhsa_uses_dynamic_stack 0
		.amdhsa_enable_private_segment 0
		.amdhsa_system_sgpr_workgroup_id_x 1
		.amdhsa_system_sgpr_workgroup_id_y 0
		.amdhsa_system_sgpr_workgroup_id_z 0
		.amdhsa_system_sgpr_workgroup_info 0
		.amdhsa_system_vgpr_workitem_id 0
		.amdhsa_next_free_vgpr 10
		.amdhsa_next_free_sgpr 29
		.amdhsa_named_barrier_count 0
		.amdhsa_reserve_vcc 1
		.amdhsa_float_round_mode_32 0
		.amdhsa_float_round_mode_16_64 0
		.amdhsa_float_denorm_mode_32 3
		.amdhsa_float_denorm_mode_16_64 3
		.amdhsa_fp16_overflow 0
		.amdhsa_memory_ordered 1
		.amdhsa_forward_progress 1
		.amdhsa_inst_pref_size 8
		.amdhsa_round_robin_scheduling 0
		.amdhsa_exception_fp_ieee_invalid_op 0
		.amdhsa_exception_fp_denorm_src 0
		.amdhsa_exception_fp_ieee_div_zero 0
		.amdhsa_exception_fp_ieee_overflow 0
		.amdhsa_exception_fp_ieee_underflow 0
		.amdhsa_exception_fp_ieee_inexact 0
		.amdhsa_exception_int_div_zero 0
	.end_amdhsa_kernel
	.section	.text._ZN9rocsparseL23check_matrix_csr_deviceILj256ELj64EdiiEEvT3_S1_T2_PKT1_PKS2_PKS1_S9_21rocsparse_index_base_22rocsparse_matrix_type_20rocsparse_fill_mode_23rocsparse_storage_mode_P22rocsparse_data_status_,"axG",@progbits,_ZN9rocsparseL23check_matrix_csr_deviceILj256ELj64EdiiEEvT3_S1_T2_PKT1_PKS2_PKS1_S9_21rocsparse_index_base_22rocsparse_matrix_type_20rocsparse_fill_mode_23rocsparse_storage_mode_P22rocsparse_data_status_,comdat
.Lfunc_end13:
	.size	_ZN9rocsparseL23check_matrix_csr_deviceILj256ELj64EdiiEEvT3_S1_T2_PKT1_PKS2_PKS1_S9_21rocsparse_index_base_22rocsparse_matrix_type_20rocsparse_fill_mode_23rocsparse_storage_mode_P22rocsparse_data_status_, .Lfunc_end13-_ZN9rocsparseL23check_matrix_csr_deviceILj256ELj64EdiiEEvT3_S1_T2_PKT1_PKS2_PKS1_S9_21rocsparse_index_base_22rocsparse_matrix_type_20rocsparse_fill_mode_23rocsparse_storage_mode_P22rocsparse_data_status_
                                        ; -- End function
	.set _ZN9rocsparseL23check_matrix_csr_deviceILj256ELj64EdiiEEvT3_S1_T2_PKT1_PKS2_PKS1_S9_21rocsparse_index_base_22rocsparse_matrix_type_20rocsparse_fill_mode_23rocsparse_storage_mode_P22rocsparse_data_status_.num_vgpr, 10
	.set _ZN9rocsparseL23check_matrix_csr_deviceILj256ELj64EdiiEEvT3_S1_T2_PKT1_PKS2_PKS1_S9_21rocsparse_index_base_22rocsparse_matrix_type_20rocsparse_fill_mode_23rocsparse_storage_mode_P22rocsparse_data_status_.num_agpr, 0
	.set _ZN9rocsparseL23check_matrix_csr_deviceILj256ELj64EdiiEEvT3_S1_T2_PKT1_PKS2_PKS1_S9_21rocsparse_index_base_22rocsparse_matrix_type_20rocsparse_fill_mode_23rocsparse_storage_mode_P22rocsparse_data_status_.numbered_sgpr, 29
	.set _ZN9rocsparseL23check_matrix_csr_deviceILj256ELj64EdiiEEvT3_S1_T2_PKT1_PKS2_PKS1_S9_21rocsparse_index_base_22rocsparse_matrix_type_20rocsparse_fill_mode_23rocsparse_storage_mode_P22rocsparse_data_status_.num_named_barrier, 0
	.set _ZN9rocsparseL23check_matrix_csr_deviceILj256ELj64EdiiEEvT3_S1_T2_PKT1_PKS2_PKS1_S9_21rocsparse_index_base_22rocsparse_matrix_type_20rocsparse_fill_mode_23rocsparse_storage_mode_P22rocsparse_data_status_.private_seg_size, 0
	.set _ZN9rocsparseL23check_matrix_csr_deviceILj256ELj64EdiiEEvT3_S1_T2_PKT1_PKS2_PKS1_S9_21rocsparse_index_base_22rocsparse_matrix_type_20rocsparse_fill_mode_23rocsparse_storage_mode_P22rocsparse_data_status_.uses_vcc, 1
	.set _ZN9rocsparseL23check_matrix_csr_deviceILj256ELj64EdiiEEvT3_S1_T2_PKT1_PKS2_PKS1_S9_21rocsparse_index_base_22rocsparse_matrix_type_20rocsparse_fill_mode_23rocsparse_storage_mode_P22rocsparse_data_status_.uses_flat_scratch, 0
	.set _ZN9rocsparseL23check_matrix_csr_deviceILj256ELj64EdiiEEvT3_S1_T2_PKT1_PKS2_PKS1_S9_21rocsparse_index_base_22rocsparse_matrix_type_20rocsparse_fill_mode_23rocsparse_storage_mode_P22rocsparse_data_status_.has_dyn_sized_stack, 0
	.set _ZN9rocsparseL23check_matrix_csr_deviceILj256ELj64EdiiEEvT3_S1_T2_PKT1_PKS2_PKS1_S9_21rocsparse_index_base_22rocsparse_matrix_type_20rocsparse_fill_mode_23rocsparse_storage_mode_P22rocsparse_data_status_.has_recursion, 0
	.set _ZN9rocsparseL23check_matrix_csr_deviceILj256ELj64EdiiEEvT3_S1_T2_PKT1_PKS2_PKS1_S9_21rocsparse_index_base_22rocsparse_matrix_type_20rocsparse_fill_mode_23rocsparse_storage_mode_P22rocsparse_data_status_.has_indirect_call, 0
	.section	.AMDGPU.csdata,"",@progbits
; Kernel info:
; codeLenInByte = 1000
; TotalNumSgprs: 31
; NumVgprs: 10
; ScratchSize: 0
; MemoryBound: 0
; FloatMode: 240
; IeeeMode: 1
; LDSByteSize: 0 bytes/workgroup (compile time only)
; SGPRBlocks: 0
; VGPRBlocks: 0
; NumSGPRsForWavesPerEU: 31
; NumVGPRsForWavesPerEU: 10
; NamedBarCnt: 0
; Occupancy: 16
; WaveLimiterHint : 0
; COMPUTE_PGM_RSRC2:SCRATCH_EN: 0
; COMPUTE_PGM_RSRC2:USER_SGPR: 2
; COMPUTE_PGM_RSRC2:TRAP_HANDLER: 0
; COMPUTE_PGM_RSRC2:TGID_X_EN: 1
; COMPUTE_PGM_RSRC2:TGID_Y_EN: 0
; COMPUTE_PGM_RSRC2:TGID_Z_EN: 0
; COMPUTE_PGM_RSRC2:TIDIG_COMP_CNT: 0
	.section	.text._ZN9rocsparseL23check_matrix_csr_deviceILj256ELj128EdiiEEvT3_S1_T2_PKT1_PKS2_PKS1_S9_21rocsparse_index_base_22rocsparse_matrix_type_20rocsparse_fill_mode_23rocsparse_storage_mode_P22rocsparse_data_status_,"axG",@progbits,_ZN9rocsparseL23check_matrix_csr_deviceILj256ELj128EdiiEEvT3_S1_T2_PKT1_PKS2_PKS1_S9_21rocsparse_index_base_22rocsparse_matrix_type_20rocsparse_fill_mode_23rocsparse_storage_mode_P22rocsparse_data_status_,comdat
	.globl	_ZN9rocsparseL23check_matrix_csr_deviceILj256ELj128EdiiEEvT3_S1_T2_PKT1_PKS2_PKS1_S9_21rocsparse_index_base_22rocsparse_matrix_type_20rocsparse_fill_mode_23rocsparse_storage_mode_P22rocsparse_data_status_ ; -- Begin function _ZN9rocsparseL23check_matrix_csr_deviceILj256ELj128EdiiEEvT3_S1_T2_PKT1_PKS2_PKS1_S9_21rocsparse_index_base_22rocsparse_matrix_type_20rocsparse_fill_mode_23rocsparse_storage_mode_P22rocsparse_data_status_
	.p2align	8
	.type	_ZN9rocsparseL23check_matrix_csr_deviceILj256ELj128EdiiEEvT3_S1_T2_PKT1_PKS2_PKS1_S9_21rocsparse_index_base_22rocsparse_matrix_type_20rocsparse_fill_mode_23rocsparse_storage_mode_P22rocsparse_data_status_,@function
_ZN9rocsparseL23check_matrix_csr_deviceILj256ELj128EdiiEEvT3_S1_T2_PKT1_PKS2_PKS1_S9_21rocsparse_index_base_22rocsparse_matrix_type_20rocsparse_fill_mode_23rocsparse_storage_mode_P22rocsparse_data_status_: ; @_ZN9rocsparseL23check_matrix_csr_deviceILj256ELj128EdiiEEvT3_S1_T2_PKT1_PKS2_PKS1_S9_21rocsparse_index_base_22rocsparse_matrix_type_20rocsparse_fill_mode_23rocsparse_storage_mode_P22rocsparse_data_status_
; %bb.0:
	s_bfe_u32 s2, ttmp6, 0x4000c
	s_load_b64 s[12:13], s[0:1], 0x0
	s_add_co_i32 s2, s2, 1
	s_and_b32 s3, ttmp6, 15
	s_mul_i32 s2, ttmp9, s2
	s_getreg_b32 s4, hwreg(HW_REG_IB_STS2, 6, 4)
	s_add_co_i32 s3, s3, s2
	s_cmp_eq_u32 s4, 0
	s_cselect_b32 s2, ttmp9, s3
	s_delay_alu instid0(SALU_CYCLE_1) | instskip(SKIP_1) | instid1(VALU_DEP_1)
	v_lshl_or_b32 v1, s2, 8, v0
	s_mov_b32 s2, exec_lo
	v_lshrrev_b32_e32 v4, 7, v1
	s_wait_kmcnt 0x0
	s_delay_alu instid0(VALU_DEP_1)
	v_cmpx_gt_i32_e64 s12, v4
	s_cbranch_execz .LBB14_31
; %bb.1:
	s_load_b64 s[2:3], s[0:1], 0x18
	v_dual_lshlrev_b32 v1, 2, v4 :: v_dual_mov_b32 v7, 3
	s_wait_kmcnt 0x0
	global_load_b64 v[2:3], v1, s[2:3]
	s_wait_xcnt 0x0
	s_load_b32 s2, s[2:3], 0x0
	s_wait_loadcnt 0x0
	s_wait_kmcnt 0x0
	v_subrev_nc_u32_e32 v5, s2, v3
	v_subrev_nc_u32_e32 v6, s2, v2
	v_cmp_lt_i32_e64 s2, v3, v2
	s_delay_alu instid0(VALU_DEP_3) | instskip(NEXT) | instid1(VALU_DEP_3)
	v_cmp_gt_i32_e32 vcc_lo, 0, v5
	v_cmp_lt_i32_e64 s3, -1, v6
	s_or_b32 s2, vcc_lo, s2
	s_delay_alu instid0(SALU_CYCLE_1) | instskip(SKIP_2) | instid1(SALU_CYCLE_1)
	s_xor_b32 s4, s2, -1
	s_mov_b32 s2, -1
	s_and_b32 s3, s3, s4
	s_and_saveexec_b32 s12, s3
	s_cbranch_execz .LBB14_29
; %bb.2:
	v_and_b32_e32 v0, 0x7f, v0
	s_mov_b32 s2, 0
	s_mov_b32 s16, exec_lo
	s_delay_alu instid0(VALU_DEP_1) | instskip(NEXT) | instid1(VALU_DEP_1)
	v_dual_mov_b32 v7, 3 :: v_dual_add_nc_u32 v0, v6, v0
	v_cmpx_lt_u32_e64 v0, v5
	s_cbranch_execz .LBB14_28
; %bb.3:
	s_clause 0x1
	s_load_b256 s[4:11], s[0:1], 0x20
	s_load_b64 s[14:15], s[0:1], 0x10
                                        ; implicit-def: $sgpr18
                                        ; implicit-def: $sgpr19
                                        ; implicit-def: $sgpr20
	s_wait_kmcnt 0x0
	s_cmp_lg_u32 s9, 0
	s_cselect_b32 s9, -1, 0
	s_cmp_lg_u32 s10, 0
	s_cselect_b32 s10, -1, 0
	s_cmp_lg_u32 s11, 0
	s_mov_b32 s11, 0
	s_cselect_b32 s17, -1, 0
	s_branch .LBB14_10
.LBB14_4:                               ;   in Loop: Header=BB14_10 Depth=1
	s_or_b32 exec_lo, exec_lo, s27
	s_delay_alu instid0(SALU_CYCLE_1)
	s_or_not1_b32 s28, s3, exec_lo
	s_or_not1_b32 s2, s25, exec_lo
.LBB14_5:                               ;   in Loop: Header=BB14_10 Depth=1
	s_or_b32 exec_lo, exec_lo, s26
	s_delay_alu instid0(SALU_CYCLE_1)
	s_or_not1_b32 s3, s28, exec_lo
	s_or_not1_b32 s2, s2, exec_lo
.LBB14_6:                               ;   in Loop: Header=BB14_10 Depth=1
	s_or_b32 exec_lo, exec_lo, s24
	s_delay_alu instid0(SALU_CYCLE_1)
	s_or_not1_b32 s3, s3, exec_lo
	s_or_not1_b32 s2, s2, exec_lo
.LBB14_7:                               ;   in Loop: Header=BB14_10 Depth=1
	s_or_b32 exec_lo, exec_lo, s23
	s_delay_alu instid0(SALU_CYCLE_1)
	s_or_not1_b32 s3, s3, exec_lo
	s_or_not1_b32 s2, s2, exec_lo
.LBB14_8:                               ;   in Loop: Header=BB14_10 Depth=1
	s_or_b32 exec_lo, exec_lo, s22
	s_delay_alu instid0(SALU_CYCLE_1)
	s_and_not1_b32 s20, s20, exec_lo
	s_and_b32 s3, s3, exec_lo
	s_and_not1_b32 s19, s19, exec_lo
	s_and_b32 s2, s2, exec_lo
	s_or_b32 s20, s20, s3
	s_or_b32 s19, s19, s2
.LBB14_9:                               ;   in Loop: Header=BB14_10 Depth=1
	s_or_b32 exec_lo, exec_lo, s21
	s_delay_alu instid0(SALU_CYCLE_1) | instskip(NEXT) | instid1(SALU_CYCLE_1)
	s_and_b32 s2, exec_lo, s19
	s_or_b32 s11, s2, s11
	s_and_not1_b32 s2, s18, exec_lo
	s_and_b32 s3, s20, exec_lo
	s_delay_alu instid0(SALU_CYCLE_1)
	s_or_b32 s18, s2, s3
	s_and_not1_b32 exec_lo, exec_lo, s11
	s_cbranch_execz .LBB14_27
.LBB14_10:                              ; =>This Inner Loop Header: Depth=1
	global_load_b32 v8, v0, s[4:5] scale_offset
	v_mov_b32_e32 v7, 4
	s_or_b32 s20, s20, exec_lo
	s_or_b32 s19, s19, exec_lo
	s_wait_loadcnt 0x0
	v_subrev_nc_u32_e32 v9, s8, v8
	s_delay_alu instid0(VALU_DEP_1) | instskip(SKIP_2) | instid1(SALU_CYCLE_1)
	v_cmp_lt_i32_e32 vcc_lo, -1, v9
	v_cmp_gt_i32_e64 s2, s13, v9
	s_and_b32 s2, vcc_lo, s2
	s_and_saveexec_b32 s21, s2
	s_cbranch_execz .LBB14_9
; %bb.11:                               ;   in Loop: Header=BB14_10 Depth=1
	v_cmp_le_i32_e64 s25, v0, v6
	v_dual_ashrrev_i32 v1, 31, v0 :: v_dual_mov_b32 v7, 4
	s_mov_b32 s22, exec_lo
	s_mov_b32 s23, s25
	v_cmpx_gt_i32_e64 v0, v6
	s_cbranch_execz .LBB14_13
; %bb.12:                               ;   in Loop: Header=BB14_10 Depth=1
	v_lshl_add_u64 v[2:3], v[0:1], 2, s[6:7]
	global_load_b64 v[2:3], v[2:3], off offset:-4
	s_wait_loadcnt 0x0
	v_subrev_nc_u32_e32 v7, s8, v2
	v_cmp_ne_u32_e64 s3, v3, v2
	s_delay_alu instid0(VALU_DEP_2) | instskip(SKIP_3) | instid1(SALU_CYCLE_1)
	v_cmp_lt_i32_e32 vcc_lo, -1, v7
	v_cmp_gt_i32_e64 s2, s13, v7
	v_mov_b32_e32 v7, 5
	s_and_b32 s2, vcc_lo, s2
	s_xor_b32 s2, s2, -1
	s_delay_alu instid0(SALU_CYCLE_1) | instskip(SKIP_2) | instid1(SALU_CYCLE_1)
	s_or_b32 s2, s3, s2
	s_and_not1_b32 s3, s25, exec_lo
	s_and_b32 s2, s2, exec_lo
	s_or_b32 s23, s3, s2
.LBB14_13:                              ;   in Loop: Header=BB14_10 Depth=1
	s_or_b32 exec_lo, exec_lo, s22
	s_mov_b32 s2, -1
	s_mov_b32 s3, -1
	s_and_saveexec_b32 s22, s23
	s_cbranch_execz .LBB14_8
; %bb.14:                               ;   in Loop: Header=BB14_10 Depth=1
	v_lshl_add_u64 v[2:3], v[0:1], 3, s[14:15]
	v_mov_b32_e32 v7, 1
	s_mov_b32 s23, exec_lo
	global_load_b64 v[2:3], v[2:3], off
	s_wait_loadcnt 0x0
	v_cmpx_neq_f64_e32 0x7ff00000, v[2:3]
	s_cbranch_execz .LBB14_7
; %bb.15:                               ;   in Loop: Header=BB14_10 Depth=1
	v_mov_b32_e32 v7, 2
	s_mov_b32 s24, exec_lo
	v_cmpx_o_f64_e32 v[2:3], v[2:3]
	s_cbranch_execz .LBB14_6
; %bb.16:                               ;   in Loop: Header=BB14_10 Depth=1
	s_and_b32 vcc_lo, exec_lo, s9
	s_cbranch_vccz .LBB14_19
; %bb.17:                               ;   in Loop: Header=BB14_10 Depth=1
	s_and_b32 vcc_lo, exec_lo, s10
	s_cbranch_vccz .LBB14_20
; %bb.18:                               ;   in Loop: Header=BB14_10 Depth=1
	v_cmp_le_i32_e32 vcc_lo, v4, v9
	s_mov_b32 s3, 7
	s_and_b32 s27, vcc_lo, exec_lo
	s_cbranch_execz .LBB14_21
	s_branch .LBB14_22
.LBB14_19:                              ;   in Loop: Header=BB14_10 Depth=1
	s_mov_b32 s3, 2
	s_mov_b32 s27, -1
	s_branch .LBB14_22
.LBB14_20:                              ;   in Loop: Header=BB14_10 Depth=1
	s_mov_b32 s27, 0
	s_mov_b32 s3, 2
.LBB14_21:                              ;   in Loop: Header=BB14_10 Depth=1
	v_cmp_ge_i32_e32 vcc_lo, v4, v9
	s_and_not1_b32 s26, s27, exec_lo
	s_mov_b32 s3, 7
	s_and_b32 s27, vcc_lo, exec_lo
	s_delay_alu instid0(SALU_CYCLE_1)
	s_or_b32 s27, s26, s27
.LBB14_22:                              ;   in Loop: Header=BB14_10 Depth=1
	v_mov_b32_e32 v7, s3
	s_mov_b32 s28, -1
	s_and_saveexec_b32 s26, s27
	s_cbranch_execz .LBB14_5
; %bb.23:                               ;   in Loop: Header=BB14_10 Depth=1
	v_mov_b32_e32 v7, s3
	s_nor_b32 s3, s17, s25
	s_mov_b32 s25, -1
	s_and_saveexec_b32 s27, s3
	s_cbranch_execz .LBB14_25
; %bb.24:                               ;   in Loop: Header=BB14_10 Depth=1
	v_lshl_add_u64 v[2:3], v[0:1], 2, s[4:5]
	v_mov_b32_e32 v7, 6
	global_load_b32 v1, v[2:3], off offset:-4
	s_wait_loadcnt 0x0
	v_subrev_nc_u32_e32 v2, s8, v1
	v_cmp_gt_i32_e64 s3, v8, v1
	s_delay_alu instid0(VALU_DEP_2) | instskip(SKIP_2) | instid1(SALU_CYCLE_1)
	v_cmp_lt_i32_e32 vcc_lo, -1, v2
	v_cmp_gt_i32_e64 s2, s13, v2
	s_and_b32 s2, vcc_lo, s2
	s_xor_b32 s2, s2, -1
	s_delay_alu instid0(SALU_CYCLE_1) | instskip(NEXT) | instid1(SALU_CYCLE_1)
	s_or_b32 s2, s3, s2
	s_or_not1_b32 s2, s2, exec_lo
.LBB14_25:                              ;   in Loop: Header=BB14_10 Depth=1
	s_or_b32 exec_lo, exec_lo, s27
	s_mov_b32 s3, -1
	s_and_saveexec_b32 s27, s2
	s_cbranch_execz .LBB14_4
; %bb.26:                               ;   in Loop: Header=BB14_10 Depth=1
	v_add_nc_u32_e32 v0, 0x80, v0
	s_xor_b32 s3, exec_lo, -1
	s_delay_alu instid0(VALU_DEP_1)
	v_cmp_ge_i32_e32 vcc_lo, v0, v5
	s_or_not1_b32 s25, vcc_lo, exec_lo
	s_branch .LBB14_4
.LBB14_27:
	s_or_b32 exec_lo, exec_lo, s11
	s_delay_alu instid0(SALU_CYCLE_1)
	s_and_b32 s2, s18, exec_lo
.LBB14_28:
	s_or_b32 exec_lo, exec_lo, s16
	s_delay_alu instid0(SALU_CYCLE_1)
	s_or_not1_b32 s2, s2, exec_lo
.LBB14_29:
	s_or_b32 exec_lo, exec_lo, s12
	s_delay_alu instid0(SALU_CYCLE_1)
	s_and_b32 exec_lo, exec_lo, s2
	s_cbranch_execz .LBB14_31
; %bb.30:
	s_load_b64 s[0:1], s[0:1], 0x40
	v_mov_b32_e32 v0, 0
	s_wait_kmcnt 0x0
	global_store_b32 v0, v7, s[0:1]
.LBB14_31:
	s_endpgm
	.section	.rodata,"a",@progbits
	.p2align	6, 0x0
	.amdhsa_kernel _ZN9rocsparseL23check_matrix_csr_deviceILj256ELj128EdiiEEvT3_S1_T2_PKT1_PKS2_PKS1_S9_21rocsparse_index_base_22rocsparse_matrix_type_20rocsparse_fill_mode_23rocsparse_storage_mode_P22rocsparse_data_status_
		.amdhsa_group_segment_fixed_size 0
		.amdhsa_private_segment_fixed_size 0
		.amdhsa_kernarg_size 72
		.amdhsa_user_sgpr_count 2
		.amdhsa_user_sgpr_dispatch_ptr 0
		.amdhsa_user_sgpr_queue_ptr 0
		.amdhsa_user_sgpr_kernarg_segment_ptr 1
		.amdhsa_user_sgpr_dispatch_id 0
		.amdhsa_user_sgpr_kernarg_preload_length 0
		.amdhsa_user_sgpr_kernarg_preload_offset 0
		.amdhsa_user_sgpr_private_segment_size 0
		.amdhsa_wavefront_size32 1
		.amdhsa_uses_dynamic_stack 0
		.amdhsa_enable_private_segment 0
		.amdhsa_system_sgpr_workgroup_id_x 1
		.amdhsa_system_sgpr_workgroup_id_y 0
		.amdhsa_system_sgpr_workgroup_id_z 0
		.amdhsa_system_sgpr_workgroup_info 0
		.amdhsa_system_vgpr_workitem_id 0
		.amdhsa_next_free_vgpr 10
		.amdhsa_next_free_sgpr 29
		.amdhsa_named_barrier_count 0
		.amdhsa_reserve_vcc 1
		.amdhsa_float_round_mode_32 0
		.amdhsa_float_round_mode_16_64 0
		.amdhsa_float_denorm_mode_32 3
		.amdhsa_float_denorm_mode_16_64 3
		.amdhsa_fp16_overflow 0
		.amdhsa_memory_ordered 1
		.amdhsa_forward_progress 1
		.amdhsa_inst_pref_size 8
		.amdhsa_round_robin_scheduling 0
		.amdhsa_exception_fp_ieee_invalid_op 0
		.amdhsa_exception_fp_denorm_src 0
		.amdhsa_exception_fp_ieee_div_zero 0
		.amdhsa_exception_fp_ieee_overflow 0
		.amdhsa_exception_fp_ieee_underflow 0
		.amdhsa_exception_fp_ieee_inexact 0
		.amdhsa_exception_int_div_zero 0
	.end_amdhsa_kernel
	.section	.text._ZN9rocsparseL23check_matrix_csr_deviceILj256ELj128EdiiEEvT3_S1_T2_PKT1_PKS2_PKS1_S9_21rocsparse_index_base_22rocsparse_matrix_type_20rocsparse_fill_mode_23rocsparse_storage_mode_P22rocsparse_data_status_,"axG",@progbits,_ZN9rocsparseL23check_matrix_csr_deviceILj256ELj128EdiiEEvT3_S1_T2_PKT1_PKS2_PKS1_S9_21rocsparse_index_base_22rocsparse_matrix_type_20rocsparse_fill_mode_23rocsparse_storage_mode_P22rocsparse_data_status_,comdat
.Lfunc_end14:
	.size	_ZN9rocsparseL23check_matrix_csr_deviceILj256ELj128EdiiEEvT3_S1_T2_PKT1_PKS2_PKS1_S9_21rocsparse_index_base_22rocsparse_matrix_type_20rocsparse_fill_mode_23rocsparse_storage_mode_P22rocsparse_data_status_, .Lfunc_end14-_ZN9rocsparseL23check_matrix_csr_deviceILj256ELj128EdiiEEvT3_S1_T2_PKT1_PKS2_PKS1_S9_21rocsparse_index_base_22rocsparse_matrix_type_20rocsparse_fill_mode_23rocsparse_storage_mode_P22rocsparse_data_status_
                                        ; -- End function
	.set _ZN9rocsparseL23check_matrix_csr_deviceILj256ELj128EdiiEEvT3_S1_T2_PKT1_PKS2_PKS1_S9_21rocsparse_index_base_22rocsparse_matrix_type_20rocsparse_fill_mode_23rocsparse_storage_mode_P22rocsparse_data_status_.num_vgpr, 10
	.set _ZN9rocsparseL23check_matrix_csr_deviceILj256ELj128EdiiEEvT3_S1_T2_PKT1_PKS2_PKS1_S9_21rocsparse_index_base_22rocsparse_matrix_type_20rocsparse_fill_mode_23rocsparse_storage_mode_P22rocsparse_data_status_.num_agpr, 0
	.set _ZN9rocsparseL23check_matrix_csr_deviceILj256ELj128EdiiEEvT3_S1_T2_PKT1_PKS2_PKS1_S9_21rocsparse_index_base_22rocsparse_matrix_type_20rocsparse_fill_mode_23rocsparse_storage_mode_P22rocsparse_data_status_.numbered_sgpr, 29
	.set _ZN9rocsparseL23check_matrix_csr_deviceILj256ELj128EdiiEEvT3_S1_T2_PKT1_PKS2_PKS1_S9_21rocsparse_index_base_22rocsparse_matrix_type_20rocsparse_fill_mode_23rocsparse_storage_mode_P22rocsparse_data_status_.num_named_barrier, 0
	.set _ZN9rocsparseL23check_matrix_csr_deviceILj256ELj128EdiiEEvT3_S1_T2_PKT1_PKS2_PKS1_S9_21rocsparse_index_base_22rocsparse_matrix_type_20rocsparse_fill_mode_23rocsparse_storage_mode_P22rocsparse_data_status_.private_seg_size, 0
	.set _ZN9rocsparseL23check_matrix_csr_deviceILj256ELj128EdiiEEvT3_S1_T2_PKT1_PKS2_PKS1_S9_21rocsparse_index_base_22rocsparse_matrix_type_20rocsparse_fill_mode_23rocsparse_storage_mode_P22rocsparse_data_status_.uses_vcc, 1
	.set _ZN9rocsparseL23check_matrix_csr_deviceILj256ELj128EdiiEEvT3_S1_T2_PKT1_PKS2_PKS1_S9_21rocsparse_index_base_22rocsparse_matrix_type_20rocsparse_fill_mode_23rocsparse_storage_mode_P22rocsparse_data_status_.uses_flat_scratch, 0
	.set _ZN9rocsparseL23check_matrix_csr_deviceILj256ELj128EdiiEEvT3_S1_T2_PKT1_PKS2_PKS1_S9_21rocsparse_index_base_22rocsparse_matrix_type_20rocsparse_fill_mode_23rocsparse_storage_mode_P22rocsparse_data_status_.has_dyn_sized_stack, 0
	.set _ZN9rocsparseL23check_matrix_csr_deviceILj256ELj128EdiiEEvT3_S1_T2_PKT1_PKS2_PKS1_S9_21rocsparse_index_base_22rocsparse_matrix_type_20rocsparse_fill_mode_23rocsparse_storage_mode_P22rocsparse_data_status_.has_recursion, 0
	.set _ZN9rocsparseL23check_matrix_csr_deviceILj256ELj128EdiiEEvT3_S1_T2_PKT1_PKS2_PKS1_S9_21rocsparse_index_base_22rocsparse_matrix_type_20rocsparse_fill_mode_23rocsparse_storage_mode_P22rocsparse_data_status_.has_indirect_call, 0
	.section	.AMDGPU.csdata,"",@progbits
; Kernel info:
; codeLenInByte = 1004
; TotalNumSgprs: 31
; NumVgprs: 10
; ScratchSize: 0
; MemoryBound: 0
; FloatMode: 240
; IeeeMode: 1
; LDSByteSize: 0 bytes/workgroup (compile time only)
; SGPRBlocks: 0
; VGPRBlocks: 0
; NumSGPRsForWavesPerEU: 31
; NumVGPRsForWavesPerEU: 10
; NamedBarCnt: 0
; Occupancy: 16
; WaveLimiterHint : 0
; COMPUTE_PGM_RSRC2:SCRATCH_EN: 0
; COMPUTE_PGM_RSRC2:USER_SGPR: 2
; COMPUTE_PGM_RSRC2:TRAP_HANDLER: 0
; COMPUTE_PGM_RSRC2:TGID_X_EN: 1
; COMPUTE_PGM_RSRC2:TGID_Y_EN: 0
; COMPUTE_PGM_RSRC2:TGID_Z_EN: 0
; COMPUTE_PGM_RSRC2:TIDIG_COMP_CNT: 0
	.section	.text._ZN9rocsparseL23check_matrix_csr_deviceILj256ELj256EdiiEEvT3_S1_T2_PKT1_PKS2_PKS1_S9_21rocsparse_index_base_22rocsparse_matrix_type_20rocsparse_fill_mode_23rocsparse_storage_mode_P22rocsparse_data_status_,"axG",@progbits,_ZN9rocsparseL23check_matrix_csr_deviceILj256ELj256EdiiEEvT3_S1_T2_PKT1_PKS2_PKS1_S9_21rocsparse_index_base_22rocsparse_matrix_type_20rocsparse_fill_mode_23rocsparse_storage_mode_P22rocsparse_data_status_,comdat
	.globl	_ZN9rocsparseL23check_matrix_csr_deviceILj256ELj256EdiiEEvT3_S1_T2_PKT1_PKS2_PKS1_S9_21rocsparse_index_base_22rocsparse_matrix_type_20rocsparse_fill_mode_23rocsparse_storage_mode_P22rocsparse_data_status_ ; -- Begin function _ZN9rocsparseL23check_matrix_csr_deviceILj256ELj256EdiiEEvT3_S1_T2_PKT1_PKS2_PKS1_S9_21rocsparse_index_base_22rocsparse_matrix_type_20rocsparse_fill_mode_23rocsparse_storage_mode_P22rocsparse_data_status_
	.p2align	8
	.type	_ZN9rocsparseL23check_matrix_csr_deviceILj256ELj256EdiiEEvT3_S1_T2_PKT1_PKS2_PKS1_S9_21rocsparse_index_base_22rocsparse_matrix_type_20rocsparse_fill_mode_23rocsparse_storage_mode_P22rocsparse_data_status_,@function
_ZN9rocsparseL23check_matrix_csr_deviceILj256ELj256EdiiEEvT3_S1_T2_PKT1_PKS2_PKS1_S9_21rocsparse_index_base_22rocsparse_matrix_type_20rocsparse_fill_mode_23rocsparse_storage_mode_P22rocsparse_data_status_: ; @_ZN9rocsparseL23check_matrix_csr_deviceILj256ELj256EdiiEEvT3_S1_T2_PKT1_PKS2_PKS1_S9_21rocsparse_index_base_22rocsparse_matrix_type_20rocsparse_fill_mode_23rocsparse_storage_mode_P22rocsparse_data_status_
; %bb.0:
	s_load_b64 s[12:13], s[0:1], 0x0
	s_bfe_u32 s2, ttmp6, 0x4000c
	s_and_b32 s3, ttmp6, 15
	s_add_co_i32 s2, s2, 1
	s_getreg_b32 s4, hwreg(HW_REG_IB_STS2, 6, 4)
	s_mul_i32 s2, ttmp9, s2
	s_delay_alu instid0(SALU_CYCLE_1) | instskip(SKIP_2) | instid1(SALU_CYCLE_1)
	s_add_co_i32 s3, s3, s2
	s_cmp_eq_u32 s4, 0
	s_cselect_b32 s2, ttmp9, s3
	s_and_b32 s16, s2, 0xffffff
	s_wait_kmcnt 0x0
	s_cmp_lt_i32 s16, s12
	s_cselect_b32 s2, -1, 0
	s_delay_alu instid0(SALU_CYCLE_1)
	s_and_saveexec_b32 s3, s2
	s_cbranch_execz .LBB15_31
; %bb.1:
	s_load_b64 s[2:3], s[0:1], 0x18
	v_lshlrev_b32_e64 v1, 2, s16
	v_mov_b32_e32 v6, 3
	s_wait_kmcnt 0x0
	global_load_b64 v[2:3], v1, s[2:3]
	s_wait_xcnt 0x0
	s_load_b32 s2, s[2:3], 0x0
	s_wait_loadcnt 0x0
	s_wait_kmcnt 0x0
	v_subrev_nc_u32_e32 v4, s2, v3
	v_subrev_nc_u32_e32 v5, s2, v2
	v_cmp_lt_i32_e64 s2, v3, v2
	s_delay_alu instid0(VALU_DEP_3) | instskip(NEXT) | instid1(VALU_DEP_3)
	v_cmp_gt_i32_e32 vcc_lo, 0, v4
	v_cmp_lt_i32_e64 s3, -1, v5
	s_or_b32 s2, vcc_lo, s2
	s_delay_alu instid0(SALU_CYCLE_1) | instskip(SKIP_2) | instid1(SALU_CYCLE_1)
	s_xor_b32 s4, s2, -1
	s_mov_b32 s2, -1
	s_and_b32 s3, s3, s4
	s_and_saveexec_b32 s12, s3
	s_cbranch_execz .LBB15_29
; %bb.2:
	v_dual_add_nc_u32 v0, v5, v0 :: v_dual_mov_b32 v6, 3
	s_mov_b32 s2, 0
	s_mov_b32 s17, exec_lo
	s_delay_alu instid0(VALU_DEP_1)
	v_cmpx_lt_u32_e64 v0, v4
	s_cbranch_execz .LBB15_28
; %bb.3:
	s_clause 0x1
	s_load_b256 s[4:11], s[0:1], 0x20
	s_load_b64 s[14:15], s[0:1], 0x10
                                        ; implicit-def: $sgpr19
                                        ; implicit-def: $sgpr20
                                        ; implicit-def: $sgpr21
	s_wait_kmcnt 0x0
	s_cmp_lg_u32 s9, 0
	s_cselect_b32 s9, -1, 0
	s_cmp_lg_u32 s10, 0
	s_cselect_b32 s10, -1, 0
	s_cmp_lg_u32 s11, 0
	s_mov_b32 s11, 0
	s_cselect_b32 s18, -1, 0
	s_branch .LBB15_10
.LBB15_4:                               ;   in Loop: Header=BB15_10 Depth=1
	s_or_b32 exec_lo, exec_lo, s28
	s_delay_alu instid0(SALU_CYCLE_1)
	s_or_not1_b32 s29, s3, exec_lo
	s_or_not1_b32 s2, s26, exec_lo
.LBB15_5:                               ;   in Loop: Header=BB15_10 Depth=1
	s_or_b32 exec_lo, exec_lo, s27
	s_delay_alu instid0(SALU_CYCLE_1)
	s_or_not1_b32 s3, s29, exec_lo
	s_or_not1_b32 s2, s2, exec_lo
.LBB15_6:                               ;   in Loop: Header=BB15_10 Depth=1
	s_or_b32 exec_lo, exec_lo, s25
	s_delay_alu instid0(SALU_CYCLE_1)
	s_or_not1_b32 s3, s3, exec_lo
	s_or_not1_b32 s2, s2, exec_lo
.LBB15_7:                               ;   in Loop: Header=BB15_10 Depth=1
	s_or_b32 exec_lo, exec_lo, s24
	s_delay_alu instid0(SALU_CYCLE_1)
	s_or_not1_b32 s3, s3, exec_lo
	s_or_not1_b32 s2, s2, exec_lo
.LBB15_8:                               ;   in Loop: Header=BB15_10 Depth=1
	s_or_b32 exec_lo, exec_lo, s23
	s_delay_alu instid0(SALU_CYCLE_1)
	s_and_not1_b32 s21, s21, exec_lo
	s_and_b32 s3, s3, exec_lo
	s_and_not1_b32 s20, s20, exec_lo
	s_and_b32 s2, s2, exec_lo
	s_or_b32 s21, s21, s3
	s_or_b32 s20, s20, s2
.LBB15_9:                               ;   in Loop: Header=BB15_10 Depth=1
	s_or_b32 exec_lo, exec_lo, s22
	s_delay_alu instid0(SALU_CYCLE_1) | instskip(NEXT) | instid1(SALU_CYCLE_1)
	s_and_b32 s2, exec_lo, s20
	s_or_b32 s11, s2, s11
	s_and_not1_b32 s2, s19, exec_lo
	s_and_b32 s3, s21, exec_lo
	s_delay_alu instid0(SALU_CYCLE_1)
	s_or_b32 s19, s2, s3
	s_and_not1_b32 exec_lo, exec_lo, s11
	s_cbranch_execz .LBB15_27
.LBB15_10:                              ; =>This Inner Loop Header: Depth=1
	global_load_b32 v7, v0, s[4:5] scale_offset
	v_mov_b32_e32 v6, 4
	s_or_b32 s21, s21, exec_lo
	s_or_b32 s20, s20, exec_lo
	s_wait_loadcnt 0x0
	v_subrev_nc_u32_e32 v8, s8, v7
	s_delay_alu instid0(VALU_DEP_1) | instskip(SKIP_2) | instid1(SALU_CYCLE_1)
	v_cmp_lt_i32_e32 vcc_lo, -1, v8
	v_cmp_gt_i32_e64 s2, s13, v8
	s_and_b32 s2, vcc_lo, s2
	s_and_saveexec_b32 s22, s2
	s_cbranch_execz .LBB15_9
; %bb.11:                               ;   in Loop: Header=BB15_10 Depth=1
	v_cmp_le_i32_e64 s26, v0, v5
	v_dual_mov_b32 v6, 4 :: v_dual_ashrrev_i32 v1, 31, v0
	s_mov_b32 s23, exec_lo
	s_mov_b32 s24, s26
	v_cmpx_gt_i32_e64 v0, v5
	s_cbranch_execz .LBB15_13
; %bb.12:                               ;   in Loop: Header=BB15_10 Depth=1
	v_lshl_add_u64 v[2:3], v[0:1], 2, s[6:7]
	global_load_b64 v[2:3], v[2:3], off offset:-4
	s_wait_loadcnt 0x0
	v_subrev_nc_u32_e32 v6, s8, v2
	v_cmp_ne_u32_e64 s3, v3, v2
	s_delay_alu instid0(VALU_DEP_2) | instskip(SKIP_3) | instid1(SALU_CYCLE_1)
	v_cmp_lt_i32_e32 vcc_lo, -1, v6
	v_cmp_gt_i32_e64 s2, s13, v6
	v_mov_b32_e32 v6, 5
	s_and_b32 s2, vcc_lo, s2
	s_xor_b32 s2, s2, -1
	s_delay_alu instid0(SALU_CYCLE_1) | instskip(SKIP_2) | instid1(SALU_CYCLE_1)
	s_or_b32 s2, s3, s2
	s_and_not1_b32 s3, s26, exec_lo
	s_and_b32 s2, s2, exec_lo
	s_or_b32 s24, s3, s2
.LBB15_13:                              ;   in Loop: Header=BB15_10 Depth=1
	s_or_b32 exec_lo, exec_lo, s23
	s_mov_b32 s2, -1
	s_mov_b32 s3, -1
	s_and_saveexec_b32 s23, s24
	s_cbranch_execz .LBB15_8
; %bb.14:                               ;   in Loop: Header=BB15_10 Depth=1
	v_lshl_add_u64 v[2:3], v[0:1], 3, s[14:15]
	v_mov_b32_e32 v6, 1
	s_mov_b32 s24, exec_lo
	global_load_b64 v[2:3], v[2:3], off
	s_wait_loadcnt 0x0
	v_cmpx_neq_f64_e32 0x7ff00000, v[2:3]
	s_cbranch_execz .LBB15_7
; %bb.15:                               ;   in Loop: Header=BB15_10 Depth=1
	v_mov_b32_e32 v6, 2
	s_mov_b32 s25, exec_lo
	v_cmpx_o_f64_e32 v[2:3], v[2:3]
	s_cbranch_execz .LBB15_6
; %bb.16:                               ;   in Loop: Header=BB15_10 Depth=1
	s_and_b32 vcc_lo, exec_lo, s9
	s_cbranch_vccz .LBB15_19
; %bb.17:                               ;   in Loop: Header=BB15_10 Depth=1
	s_and_b32 vcc_lo, exec_lo, s10
	s_cbranch_vccz .LBB15_20
; %bb.18:                               ;   in Loop: Header=BB15_10 Depth=1
	v_cmp_le_i32_e32 vcc_lo, s16, v8
	s_mov_b32 s3, 7
	s_and_b32 s28, vcc_lo, exec_lo
	s_cbranch_execz .LBB15_21
	s_branch .LBB15_22
.LBB15_19:                              ;   in Loop: Header=BB15_10 Depth=1
	s_mov_b32 s3, 2
	s_mov_b32 s28, -1
	s_branch .LBB15_22
.LBB15_20:                              ;   in Loop: Header=BB15_10 Depth=1
	s_mov_b32 s28, 0
	s_mov_b32 s3, 2
.LBB15_21:                              ;   in Loop: Header=BB15_10 Depth=1
	v_cmp_ge_i32_e32 vcc_lo, s16, v8
	s_and_not1_b32 s27, s28, exec_lo
	s_mov_b32 s3, 7
	s_and_b32 s28, vcc_lo, exec_lo
	s_delay_alu instid0(SALU_CYCLE_1)
	s_or_b32 s28, s27, s28
.LBB15_22:                              ;   in Loop: Header=BB15_10 Depth=1
	v_mov_b32_e32 v6, s3
	s_mov_b32 s29, -1
	s_and_saveexec_b32 s27, s28
	s_cbranch_execz .LBB15_5
; %bb.23:                               ;   in Loop: Header=BB15_10 Depth=1
	v_mov_b32_e32 v6, s3
	s_nor_b32 s3, s18, s26
	s_mov_b32 s26, -1
	s_and_saveexec_b32 s28, s3
	s_cbranch_execz .LBB15_25
; %bb.24:                               ;   in Loop: Header=BB15_10 Depth=1
	v_lshl_add_u64 v[2:3], v[0:1], 2, s[4:5]
	v_mov_b32_e32 v6, 6
	global_load_b32 v1, v[2:3], off offset:-4
	s_wait_loadcnt 0x0
	v_subrev_nc_u32_e32 v2, s8, v1
	v_cmp_gt_i32_e64 s3, v7, v1
	s_delay_alu instid0(VALU_DEP_2) | instskip(SKIP_2) | instid1(SALU_CYCLE_1)
	v_cmp_lt_i32_e32 vcc_lo, -1, v2
	v_cmp_gt_i32_e64 s2, s13, v2
	s_and_b32 s2, vcc_lo, s2
	s_xor_b32 s2, s2, -1
	s_delay_alu instid0(SALU_CYCLE_1) | instskip(NEXT) | instid1(SALU_CYCLE_1)
	s_or_b32 s2, s3, s2
	s_or_not1_b32 s2, s2, exec_lo
.LBB15_25:                              ;   in Loop: Header=BB15_10 Depth=1
	s_or_b32 exec_lo, exec_lo, s28
	s_mov_b32 s3, -1
	s_and_saveexec_b32 s28, s2
	s_cbranch_execz .LBB15_4
; %bb.26:                               ;   in Loop: Header=BB15_10 Depth=1
	v_add_nc_u32_e32 v0, 0x100, v0
	s_xor_b32 s3, exec_lo, -1
	s_delay_alu instid0(VALU_DEP_1)
	v_cmp_ge_i32_e32 vcc_lo, v0, v4
	s_or_not1_b32 s26, vcc_lo, exec_lo
	s_branch .LBB15_4
.LBB15_27:
	s_or_b32 exec_lo, exec_lo, s11
	s_delay_alu instid0(SALU_CYCLE_1)
	s_and_b32 s2, s19, exec_lo
.LBB15_28:
	s_or_b32 exec_lo, exec_lo, s17
	s_delay_alu instid0(SALU_CYCLE_1)
	s_or_not1_b32 s2, s2, exec_lo
.LBB15_29:
	s_or_b32 exec_lo, exec_lo, s12
	s_delay_alu instid0(SALU_CYCLE_1)
	s_and_b32 exec_lo, exec_lo, s2
	s_cbranch_execz .LBB15_31
; %bb.30:
	s_load_b64 s[0:1], s[0:1], 0x40
	v_mov_b32_e32 v0, 0
	s_wait_kmcnt 0x0
	global_store_b32 v0, v6, s[0:1]
.LBB15_31:
	s_endpgm
	.section	.rodata,"a",@progbits
	.p2align	6, 0x0
	.amdhsa_kernel _ZN9rocsparseL23check_matrix_csr_deviceILj256ELj256EdiiEEvT3_S1_T2_PKT1_PKS2_PKS1_S9_21rocsparse_index_base_22rocsparse_matrix_type_20rocsparse_fill_mode_23rocsparse_storage_mode_P22rocsparse_data_status_
		.amdhsa_group_segment_fixed_size 0
		.amdhsa_private_segment_fixed_size 0
		.amdhsa_kernarg_size 72
		.amdhsa_user_sgpr_count 2
		.amdhsa_user_sgpr_dispatch_ptr 0
		.amdhsa_user_sgpr_queue_ptr 0
		.amdhsa_user_sgpr_kernarg_segment_ptr 1
		.amdhsa_user_sgpr_dispatch_id 0
		.amdhsa_user_sgpr_kernarg_preload_length 0
		.amdhsa_user_sgpr_kernarg_preload_offset 0
		.amdhsa_user_sgpr_private_segment_size 0
		.amdhsa_wavefront_size32 1
		.amdhsa_uses_dynamic_stack 0
		.amdhsa_enable_private_segment 0
		.amdhsa_system_sgpr_workgroup_id_x 1
		.amdhsa_system_sgpr_workgroup_id_y 0
		.amdhsa_system_sgpr_workgroup_id_z 0
		.amdhsa_system_sgpr_workgroup_info 0
		.amdhsa_system_vgpr_workitem_id 0
		.amdhsa_next_free_vgpr 9
		.amdhsa_next_free_sgpr 30
		.amdhsa_named_barrier_count 0
		.amdhsa_reserve_vcc 1
		.amdhsa_float_round_mode_32 0
		.amdhsa_float_round_mode_16_64 0
		.amdhsa_float_denorm_mode_32 3
		.amdhsa_float_denorm_mode_16_64 3
		.amdhsa_fp16_overflow 0
		.amdhsa_memory_ordered 1
		.amdhsa_forward_progress 1
		.amdhsa_inst_pref_size 8
		.amdhsa_round_robin_scheduling 0
		.amdhsa_exception_fp_ieee_invalid_op 0
		.amdhsa_exception_fp_denorm_src 0
		.amdhsa_exception_fp_ieee_div_zero 0
		.amdhsa_exception_fp_ieee_overflow 0
		.amdhsa_exception_fp_ieee_underflow 0
		.amdhsa_exception_fp_ieee_inexact 0
		.amdhsa_exception_int_div_zero 0
	.end_amdhsa_kernel
	.section	.text._ZN9rocsparseL23check_matrix_csr_deviceILj256ELj256EdiiEEvT3_S1_T2_PKT1_PKS2_PKS1_S9_21rocsparse_index_base_22rocsparse_matrix_type_20rocsparse_fill_mode_23rocsparse_storage_mode_P22rocsparse_data_status_,"axG",@progbits,_ZN9rocsparseL23check_matrix_csr_deviceILj256ELj256EdiiEEvT3_S1_T2_PKT1_PKS2_PKS1_S9_21rocsparse_index_base_22rocsparse_matrix_type_20rocsparse_fill_mode_23rocsparse_storage_mode_P22rocsparse_data_status_,comdat
.Lfunc_end15:
	.size	_ZN9rocsparseL23check_matrix_csr_deviceILj256ELj256EdiiEEvT3_S1_T2_PKT1_PKS2_PKS1_S9_21rocsparse_index_base_22rocsparse_matrix_type_20rocsparse_fill_mode_23rocsparse_storage_mode_P22rocsparse_data_status_, .Lfunc_end15-_ZN9rocsparseL23check_matrix_csr_deviceILj256ELj256EdiiEEvT3_S1_T2_PKT1_PKS2_PKS1_S9_21rocsparse_index_base_22rocsparse_matrix_type_20rocsparse_fill_mode_23rocsparse_storage_mode_P22rocsparse_data_status_
                                        ; -- End function
	.set _ZN9rocsparseL23check_matrix_csr_deviceILj256ELj256EdiiEEvT3_S1_T2_PKT1_PKS2_PKS1_S9_21rocsparse_index_base_22rocsparse_matrix_type_20rocsparse_fill_mode_23rocsparse_storage_mode_P22rocsparse_data_status_.num_vgpr, 9
	.set _ZN9rocsparseL23check_matrix_csr_deviceILj256ELj256EdiiEEvT3_S1_T2_PKT1_PKS2_PKS1_S9_21rocsparse_index_base_22rocsparse_matrix_type_20rocsparse_fill_mode_23rocsparse_storage_mode_P22rocsparse_data_status_.num_agpr, 0
	.set _ZN9rocsparseL23check_matrix_csr_deviceILj256ELj256EdiiEEvT3_S1_T2_PKT1_PKS2_PKS1_S9_21rocsparse_index_base_22rocsparse_matrix_type_20rocsparse_fill_mode_23rocsparse_storage_mode_P22rocsparse_data_status_.numbered_sgpr, 30
	.set _ZN9rocsparseL23check_matrix_csr_deviceILj256ELj256EdiiEEvT3_S1_T2_PKT1_PKS2_PKS1_S9_21rocsparse_index_base_22rocsparse_matrix_type_20rocsparse_fill_mode_23rocsparse_storage_mode_P22rocsparse_data_status_.num_named_barrier, 0
	.set _ZN9rocsparseL23check_matrix_csr_deviceILj256ELj256EdiiEEvT3_S1_T2_PKT1_PKS2_PKS1_S9_21rocsparse_index_base_22rocsparse_matrix_type_20rocsparse_fill_mode_23rocsparse_storage_mode_P22rocsparse_data_status_.private_seg_size, 0
	.set _ZN9rocsparseL23check_matrix_csr_deviceILj256ELj256EdiiEEvT3_S1_T2_PKT1_PKS2_PKS1_S9_21rocsparse_index_base_22rocsparse_matrix_type_20rocsparse_fill_mode_23rocsparse_storage_mode_P22rocsparse_data_status_.uses_vcc, 1
	.set _ZN9rocsparseL23check_matrix_csr_deviceILj256ELj256EdiiEEvT3_S1_T2_PKT1_PKS2_PKS1_S9_21rocsparse_index_base_22rocsparse_matrix_type_20rocsparse_fill_mode_23rocsparse_storage_mode_P22rocsparse_data_status_.uses_flat_scratch, 0
	.set _ZN9rocsparseL23check_matrix_csr_deviceILj256ELj256EdiiEEvT3_S1_T2_PKT1_PKS2_PKS1_S9_21rocsparse_index_base_22rocsparse_matrix_type_20rocsparse_fill_mode_23rocsparse_storage_mode_P22rocsparse_data_status_.has_dyn_sized_stack, 0
	.set _ZN9rocsparseL23check_matrix_csr_deviceILj256ELj256EdiiEEvT3_S1_T2_PKT1_PKS2_PKS1_S9_21rocsparse_index_base_22rocsparse_matrix_type_20rocsparse_fill_mode_23rocsparse_storage_mode_P22rocsparse_data_status_.has_recursion, 0
	.set _ZN9rocsparseL23check_matrix_csr_deviceILj256ELj256EdiiEEvT3_S1_T2_PKT1_PKS2_PKS1_S9_21rocsparse_index_base_22rocsparse_matrix_type_20rocsparse_fill_mode_23rocsparse_storage_mode_P22rocsparse_data_status_.has_indirect_call, 0
	.section	.AMDGPU.csdata,"",@progbits
; Kernel info:
; codeLenInByte = 992
; TotalNumSgprs: 32
; NumVgprs: 9
; ScratchSize: 0
; MemoryBound: 0
; FloatMode: 240
; IeeeMode: 1
; LDSByteSize: 0 bytes/workgroup (compile time only)
; SGPRBlocks: 0
; VGPRBlocks: 0
; NumSGPRsForWavesPerEU: 32
; NumVGPRsForWavesPerEU: 9
; NamedBarCnt: 0
; Occupancy: 16
; WaveLimiterHint : 0
; COMPUTE_PGM_RSRC2:SCRATCH_EN: 0
; COMPUTE_PGM_RSRC2:USER_SGPR: 2
; COMPUTE_PGM_RSRC2:TRAP_HANDLER: 0
; COMPUTE_PGM_RSRC2:TGID_X_EN: 1
; COMPUTE_PGM_RSRC2:TGID_Y_EN: 0
; COMPUTE_PGM_RSRC2:TGID_Z_EN: 0
; COMPUTE_PGM_RSRC2:TIDIG_COMP_CNT: 0
	.section	.text._ZN9rocsparseL23check_matrix_csr_deviceILj256ELj4E21rocsparse_complex_numIfEiiEEvT3_S3_T2_PKT1_PKS4_PKS3_SB_21rocsparse_index_base_22rocsparse_matrix_type_20rocsparse_fill_mode_23rocsparse_storage_mode_P22rocsparse_data_status_,"axG",@progbits,_ZN9rocsparseL23check_matrix_csr_deviceILj256ELj4E21rocsparse_complex_numIfEiiEEvT3_S3_T2_PKT1_PKS4_PKS3_SB_21rocsparse_index_base_22rocsparse_matrix_type_20rocsparse_fill_mode_23rocsparse_storage_mode_P22rocsparse_data_status_,comdat
	.globl	_ZN9rocsparseL23check_matrix_csr_deviceILj256ELj4E21rocsparse_complex_numIfEiiEEvT3_S3_T2_PKT1_PKS4_PKS3_SB_21rocsparse_index_base_22rocsparse_matrix_type_20rocsparse_fill_mode_23rocsparse_storage_mode_P22rocsparse_data_status_ ; -- Begin function _ZN9rocsparseL23check_matrix_csr_deviceILj256ELj4E21rocsparse_complex_numIfEiiEEvT3_S3_T2_PKT1_PKS4_PKS3_SB_21rocsparse_index_base_22rocsparse_matrix_type_20rocsparse_fill_mode_23rocsparse_storage_mode_P22rocsparse_data_status_
	.p2align	8
	.type	_ZN9rocsparseL23check_matrix_csr_deviceILj256ELj4E21rocsparse_complex_numIfEiiEEvT3_S3_T2_PKT1_PKS4_PKS3_SB_21rocsparse_index_base_22rocsparse_matrix_type_20rocsparse_fill_mode_23rocsparse_storage_mode_P22rocsparse_data_status_,@function
_ZN9rocsparseL23check_matrix_csr_deviceILj256ELj4E21rocsparse_complex_numIfEiiEEvT3_S3_T2_PKT1_PKS4_PKS3_SB_21rocsparse_index_base_22rocsparse_matrix_type_20rocsparse_fill_mode_23rocsparse_storage_mode_P22rocsparse_data_status_: ; @_ZN9rocsparseL23check_matrix_csr_deviceILj256ELj4E21rocsparse_complex_numIfEiiEEvT3_S3_T2_PKT1_PKS4_PKS3_SB_21rocsparse_index_base_22rocsparse_matrix_type_20rocsparse_fill_mode_23rocsparse_storage_mode_P22rocsparse_data_status_
; %bb.0:
	s_bfe_u32 s2, ttmp6, 0x4000c
	s_load_b64 s[12:13], s[0:1], 0x0
	s_add_co_i32 s2, s2, 1
	s_and_b32 s3, ttmp6, 15
	s_mul_i32 s2, ttmp9, s2
	s_getreg_b32 s4, hwreg(HW_REG_IB_STS2, 6, 4)
	s_add_co_i32 s3, s3, s2
	s_cmp_eq_u32 s4, 0
	s_cselect_b32 s2, ttmp9, s3
	s_delay_alu instid0(SALU_CYCLE_1) | instskip(SKIP_1) | instid1(VALU_DEP_1)
	v_lshl_or_b32 v1, s2, 8, v0
	s_mov_b32 s2, exec_lo
	v_lshrrev_b32_e32 v4, 2, v1
	s_wait_kmcnt 0x0
	s_delay_alu instid0(VALU_DEP_1)
	v_cmpx_gt_i32_e64 s12, v4
	s_cbranch_execz .LBB16_31
; %bb.1:
	s_load_b64 s[2:3], s[0:1], 0x18
	v_dual_lshlrev_b32 v1, 2, v4 :: v_dual_mov_b32 v7, 3
	s_wait_kmcnt 0x0
	global_load_b64 v[2:3], v1, s[2:3]
	s_wait_xcnt 0x0
	s_load_b32 s2, s[2:3], 0x0
	s_wait_loadcnt 0x0
	s_wait_kmcnt 0x0
	v_subrev_nc_u32_e32 v5, s2, v3
	v_subrev_nc_u32_e32 v6, s2, v2
	v_cmp_lt_i32_e64 s2, v3, v2
	s_delay_alu instid0(VALU_DEP_3) | instskip(NEXT) | instid1(VALU_DEP_3)
	v_cmp_gt_i32_e32 vcc_lo, 0, v5
	v_cmp_lt_i32_e64 s3, -1, v6
	s_or_b32 s2, vcc_lo, s2
	s_delay_alu instid0(SALU_CYCLE_1) | instskip(SKIP_2) | instid1(SALU_CYCLE_1)
	s_xor_b32 s4, s2, -1
	s_mov_b32 s2, -1
	s_and_b32 s3, s3, s4
	s_and_saveexec_b32 s12, s3
	s_cbranch_execz .LBB16_29
; %bb.2:
	v_dual_mov_b32 v7, 3 :: v_dual_bitop2_b32 v0, 3, v0 bitop3:0x40
	s_mov_b32 s2, 0
	s_mov_b32 s16, exec_lo
	s_delay_alu instid0(VALU_DEP_1) | instskip(NEXT) | instid1(VALU_DEP_1)
	v_add_nc_u32_e32 v0, v6, v0
	v_cmpx_lt_u32_e64 v0, v5
	s_cbranch_execz .LBB16_28
; %bb.3:
	s_clause 0x1
	s_load_b256 s[4:11], s[0:1], 0x20
	s_load_b64 s[14:15], s[0:1], 0x10
                                        ; implicit-def: $sgpr18
                                        ; implicit-def: $sgpr19
                                        ; implicit-def: $sgpr20
	s_wait_kmcnt 0x0
	s_cmp_lg_u32 s9, 0
	s_cselect_b32 s9, -1, 0
	s_cmp_lg_u32 s10, 0
	s_cselect_b32 s10, -1, 0
	s_cmp_lg_u32 s11, 0
	s_mov_b32 s11, 0
	s_cselect_b32 s17, -1, 0
	s_branch .LBB16_10
.LBB16_4:                               ;   in Loop: Header=BB16_10 Depth=1
	s_or_b32 exec_lo, exec_lo, s27
	s_delay_alu instid0(SALU_CYCLE_1)
	s_or_not1_b32 s28, s3, exec_lo
	s_or_not1_b32 s2, s25, exec_lo
.LBB16_5:                               ;   in Loop: Header=BB16_10 Depth=1
	s_or_b32 exec_lo, exec_lo, s26
	s_delay_alu instid0(SALU_CYCLE_1)
	s_or_not1_b32 s3, s28, exec_lo
	s_or_not1_b32 s2, s2, exec_lo
.LBB16_6:                               ;   in Loop: Header=BB16_10 Depth=1
	s_or_b32 exec_lo, exec_lo, s24
	s_delay_alu instid0(SALU_CYCLE_1)
	s_or_not1_b32 s24, s3, exec_lo
	s_or_not1_b32 s3, s2, exec_lo
.LBB16_7:                               ;   in Loop: Header=BB16_10 Depth=1
	s_or_b32 exec_lo, exec_lo, s23
	s_delay_alu instid0(SALU_CYCLE_1)
	s_or_not1_b32 s23, s24, exec_lo
	s_or_not1_b32 s2, s3, exec_lo
.LBB16_8:                               ;   in Loop: Header=BB16_10 Depth=1
	s_or_b32 exec_lo, exec_lo, s22
	s_delay_alu instid0(SALU_CYCLE_1)
	s_and_not1_b32 s3, s20, exec_lo
	s_and_b32 s20, s23, exec_lo
	s_and_not1_b32 s19, s19, exec_lo
	s_and_b32 s2, s2, exec_lo
	s_or_b32 s20, s3, s20
	s_or_b32 s19, s19, s2
.LBB16_9:                               ;   in Loop: Header=BB16_10 Depth=1
	s_or_b32 exec_lo, exec_lo, s21
	s_delay_alu instid0(SALU_CYCLE_1) | instskip(NEXT) | instid1(SALU_CYCLE_1)
	s_and_b32 s2, exec_lo, s19
	s_or_b32 s11, s2, s11
	s_and_not1_b32 s2, s18, exec_lo
	s_and_b32 s3, s20, exec_lo
	s_delay_alu instid0(SALU_CYCLE_1)
	s_or_b32 s18, s2, s3
	s_and_not1_b32 exec_lo, exec_lo, s11
	s_cbranch_execz .LBB16_27
.LBB16_10:                              ; =>This Inner Loop Header: Depth=1
	global_load_b32 v8, v0, s[4:5] scale_offset
	v_mov_b32_e32 v7, 4
	s_or_b32 s20, s20, exec_lo
	s_or_b32 s19, s19, exec_lo
	s_wait_loadcnt 0x0
	v_subrev_nc_u32_e32 v9, s8, v8
	s_delay_alu instid0(VALU_DEP_1) | instskip(SKIP_2) | instid1(SALU_CYCLE_1)
	v_cmp_lt_i32_e32 vcc_lo, -1, v9
	v_cmp_gt_i32_e64 s2, s13, v9
	s_and_b32 s2, vcc_lo, s2
	s_and_saveexec_b32 s21, s2
	s_cbranch_execz .LBB16_9
; %bb.11:                               ;   in Loop: Header=BB16_10 Depth=1
	v_cmp_le_i32_e64 s25, v0, v6
	v_dual_ashrrev_i32 v1, 31, v0 :: v_dual_mov_b32 v7, 4
	s_mov_b32 s22, exec_lo
	s_mov_b32 s3, s25
	v_cmpx_gt_i32_e64 v0, v6
	s_cbranch_execz .LBB16_13
; %bb.12:                               ;   in Loop: Header=BB16_10 Depth=1
	v_lshl_add_u64 v[2:3], v[0:1], 2, s[6:7]
	global_load_b64 v[2:3], v[2:3], off offset:-4
	s_wait_loadcnt 0x0
	v_subrev_nc_u32_e32 v7, s8, v2
	v_cmp_ne_u32_e64 s3, v3, v2
	s_delay_alu instid0(VALU_DEP_2) | instskip(SKIP_3) | instid1(SALU_CYCLE_1)
	v_cmp_lt_i32_e32 vcc_lo, -1, v7
	v_cmp_gt_i32_e64 s2, s13, v7
	v_mov_b32_e32 v7, 5
	s_and_b32 s2, vcc_lo, s2
	s_xor_b32 s2, s2, -1
	s_delay_alu instid0(SALU_CYCLE_1) | instskip(SKIP_2) | instid1(SALU_CYCLE_1)
	s_or_b32 s2, s3, s2
	s_and_not1_b32 s3, s25, exec_lo
	s_and_b32 s2, s2, exec_lo
	s_or_b32 s3, s3, s2
.LBB16_13:                              ;   in Loop: Header=BB16_10 Depth=1
	s_or_b32 exec_lo, exec_lo, s22
	s_mov_b32 s2, -1
	s_mov_b32 s23, -1
	s_and_saveexec_b32 s22, s3
	s_cbranch_execz .LBB16_8
; %bb.14:                               ;   in Loop: Header=BB16_10 Depth=1
	v_lshl_add_u64 v[2:3], v[0:1], 3, s[14:15]
	v_mov_b32_e32 v7, 1
	s_mov_b32 s3, -1
	s_mov_b32 s24, -1
	global_load_b64 v[2:3], v[2:3], off
	s_wait_loadcnt 0x0
	v_cmp_neq_f32_e32 vcc_lo, 0x7f800000, v2
	v_cmp_neq_f32_e64 s2, 0x7f800000, v3
	s_and_b32 s2, vcc_lo, s2
	s_delay_alu instid0(SALU_CYCLE_1)
	s_and_saveexec_b32 s23, s2
	s_cbranch_execz .LBB16_7
; %bb.15:                               ;   in Loop: Header=BB16_10 Depth=1
	v_mov_b32_e32 v7, 2
	s_mov_b32 s2, -1
	s_mov_b32 s24, exec_lo
	v_cmpx_o_f32_e32 v2, v3
	s_cbranch_execz .LBB16_6
; %bb.16:                               ;   in Loop: Header=BB16_10 Depth=1
	s_and_b32 vcc_lo, exec_lo, s9
	s_cbranch_vccz .LBB16_19
; %bb.17:                               ;   in Loop: Header=BB16_10 Depth=1
	s_and_b32 vcc_lo, exec_lo, s10
	s_cbranch_vccz .LBB16_20
; %bb.18:                               ;   in Loop: Header=BB16_10 Depth=1
	v_cmp_le_i32_e32 vcc_lo, v4, v9
	s_mov_b32 s3, 7
	s_and_b32 s27, vcc_lo, exec_lo
	s_cbranch_execz .LBB16_21
	s_branch .LBB16_22
.LBB16_19:                              ;   in Loop: Header=BB16_10 Depth=1
	s_mov_b32 s3, 2
	s_mov_b32 s27, -1
	s_branch .LBB16_22
.LBB16_20:                              ;   in Loop: Header=BB16_10 Depth=1
	s_mov_b32 s27, 0
	s_mov_b32 s3, 2
.LBB16_21:                              ;   in Loop: Header=BB16_10 Depth=1
	v_cmp_ge_i32_e32 vcc_lo, v4, v9
	s_and_not1_b32 s26, s27, exec_lo
	s_mov_b32 s3, 7
	s_and_b32 s27, vcc_lo, exec_lo
	s_delay_alu instid0(SALU_CYCLE_1)
	s_or_b32 s27, s26, s27
.LBB16_22:                              ;   in Loop: Header=BB16_10 Depth=1
	v_mov_b32_e32 v7, s3
	s_mov_b32 s28, -1
	s_and_saveexec_b32 s26, s27
	s_cbranch_execz .LBB16_5
; %bb.23:                               ;   in Loop: Header=BB16_10 Depth=1
	v_mov_b32_e32 v7, s3
	s_nor_b32 s3, s17, s25
	s_mov_b32 s25, -1
	s_and_saveexec_b32 s27, s3
	s_cbranch_execz .LBB16_25
; %bb.24:                               ;   in Loop: Header=BB16_10 Depth=1
	v_lshl_add_u64 v[2:3], v[0:1], 2, s[4:5]
	v_mov_b32_e32 v7, 6
	global_load_b32 v1, v[2:3], off offset:-4
	s_wait_loadcnt 0x0
	v_subrev_nc_u32_e32 v2, s8, v1
	v_cmp_gt_i32_e64 s3, v8, v1
	s_delay_alu instid0(VALU_DEP_2) | instskip(SKIP_2) | instid1(SALU_CYCLE_1)
	v_cmp_lt_i32_e32 vcc_lo, -1, v2
	v_cmp_gt_i32_e64 s2, s13, v2
	s_and_b32 s2, vcc_lo, s2
	s_xor_b32 s2, s2, -1
	s_delay_alu instid0(SALU_CYCLE_1) | instskip(NEXT) | instid1(SALU_CYCLE_1)
	s_or_b32 s2, s3, s2
	s_or_not1_b32 s2, s2, exec_lo
.LBB16_25:                              ;   in Loop: Header=BB16_10 Depth=1
	s_or_b32 exec_lo, exec_lo, s27
	s_mov_b32 s3, -1
	s_and_saveexec_b32 s27, s2
	s_cbranch_execz .LBB16_4
; %bb.26:                               ;   in Loop: Header=BB16_10 Depth=1
	v_add_nc_u32_e32 v0, 4, v0
	s_xor_b32 s3, exec_lo, -1
	s_delay_alu instid0(VALU_DEP_1)
	v_cmp_ge_i32_e32 vcc_lo, v0, v5
	s_or_not1_b32 s25, vcc_lo, exec_lo
	s_branch .LBB16_4
.LBB16_27:
	s_or_b32 exec_lo, exec_lo, s11
	s_delay_alu instid0(SALU_CYCLE_1)
	s_and_b32 s2, s18, exec_lo
.LBB16_28:
	s_or_b32 exec_lo, exec_lo, s16
	s_delay_alu instid0(SALU_CYCLE_1)
	s_or_not1_b32 s2, s2, exec_lo
.LBB16_29:
	s_or_b32 exec_lo, exec_lo, s12
	s_delay_alu instid0(SALU_CYCLE_1)
	s_and_b32 exec_lo, exec_lo, s2
	s_cbranch_execz .LBB16_31
; %bb.30:
	s_load_b64 s[0:1], s[0:1], 0x40
	v_mov_b32_e32 v0, 0
	s_wait_kmcnt 0x0
	global_store_b32 v0, v7, s[0:1]
.LBB16_31:
	s_endpgm
	.section	.rodata,"a",@progbits
	.p2align	6, 0x0
	.amdhsa_kernel _ZN9rocsparseL23check_matrix_csr_deviceILj256ELj4E21rocsparse_complex_numIfEiiEEvT3_S3_T2_PKT1_PKS4_PKS3_SB_21rocsparse_index_base_22rocsparse_matrix_type_20rocsparse_fill_mode_23rocsparse_storage_mode_P22rocsparse_data_status_
		.amdhsa_group_segment_fixed_size 0
		.amdhsa_private_segment_fixed_size 0
		.amdhsa_kernarg_size 72
		.amdhsa_user_sgpr_count 2
		.amdhsa_user_sgpr_dispatch_ptr 0
		.amdhsa_user_sgpr_queue_ptr 0
		.amdhsa_user_sgpr_kernarg_segment_ptr 1
		.amdhsa_user_sgpr_dispatch_id 0
		.amdhsa_user_sgpr_kernarg_preload_length 0
		.amdhsa_user_sgpr_kernarg_preload_offset 0
		.amdhsa_user_sgpr_private_segment_size 0
		.amdhsa_wavefront_size32 1
		.amdhsa_uses_dynamic_stack 0
		.amdhsa_enable_private_segment 0
		.amdhsa_system_sgpr_workgroup_id_x 1
		.amdhsa_system_sgpr_workgroup_id_y 0
		.amdhsa_system_sgpr_workgroup_id_z 0
		.amdhsa_system_sgpr_workgroup_info 0
		.amdhsa_system_vgpr_workitem_id 0
		.amdhsa_next_free_vgpr 10
		.amdhsa_next_free_sgpr 29
		.amdhsa_named_barrier_count 0
		.amdhsa_reserve_vcc 1
		.amdhsa_float_round_mode_32 0
		.amdhsa_float_round_mode_16_64 0
		.amdhsa_float_denorm_mode_32 3
		.amdhsa_float_denorm_mode_16_64 3
		.amdhsa_fp16_overflow 0
		.amdhsa_memory_ordered 1
		.amdhsa_forward_progress 1
		.amdhsa_inst_pref_size 9
		.amdhsa_round_robin_scheduling 0
		.amdhsa_exception_fp_ieee_invalid_op 0
		.amdhsa_exception_fp_denorm_src 0
		.amdhsa_exception_fp_ieee_div_zero 0
		.amdhsa_exception_fp_ieee_overflow 0
		.amdhsa_exception_fp_ieee_underflow 0
		.amdhsa_exception_fp_ieee_inexact 0
		.amdhsa_exception_int_div_zero 0
	.end_amdhsa_kernel
	.section	.text._ZN9rocsparseL23check_matrix_csr_deviceILj256ELj4E21rocsparse_complex_numIfEiiEEvT3_S3_T2_PKT1_PKS4_PKS3_SB_21rocsparse_index_base_22rocsparse_matrix_type_20rocsparse_fill_mode_23rocsparse_storage_mode_P22rocsparse_data_status_,"axG",@progbits,_ZN9rocsparseL23check_matrix_csr_deviceILj256ELj4E21rocsparse_complex_numIfEiiEEvT3_S3_T2_PKT1_PKS4_PKS3_SB_21rocsparse_index_base_22rocsparse_matrix_type_20rocsparse_fill_mode_23rocsparse_storage_mode_P22rocsparse_data_status_,comdat
.Lfunc_end16:
	.size	_ZN9rocsparseL23check_matrix_csr_deviceILj256ELj4E21rocsparse_complex_numIfEiiEEvT3_S3_T2_PKT1_PKS4_PKS3_SB_21rocsparse_index_base_22rocsparse_matrix_type_20rocsparse_fill_mode_23rocsparse_storage_mode_P22rocsparse_data_status_, .Lfunc_end16-_ZN9rocsparseL23check_matrix_csr_deviceILj256ELj4E21rocsparse_complex_numIfEiiEEvT3_S3_T2_PKT1_PKS4_PKS3_SB_21rocsparse_index_base_22rocsparse_matrix_type_20rocsparse_fill_mode_23rocsparse_storage_mode_P22rocsparse_data_status_
                                        ; -- End function
	.set _ZN9rocsparseL23check_matrix_csr_deviceILj256ELj4E21rocsparse_complex_numIfEiiEEvT3_S3_T2_PKT1_PKS4_PKS3_SB_21rocsparse_index_base_22rocsparse_matrix_type_20rocsparse_fill_mode_23rocsparse_storage_mode_P22rocsparse_data_status_.num_vgpr, 10
	.set _ZN9rocsparseL23check_matrix_csr_deviceILj256ELj4E21rocsparse_complex_numIfEiiEEvT3_S3_T2_PKT1_PKS4_PKS3_SB_21rocsparse_index_base_22rocsparse_matrix_type_20rocsparse_fill_mode_23rocsparse_storage_mode_P22rocsparse_data_status_.num_agpr, 0
	.set _ZN9rocsparseL23check_matrix_csr_deviceILj256ELj4E21rocsparse_complex_numIfEiiEEvT3_S3_T2_PKT1_PKS4_PKS3_SB_21rocsparse_index_base_22rocsparse_matrix_type_20rocsparse_fill_mode_23rocsparse_storage_mode_P22rocsparse_data_status_.numbered_sgpr, 29
	.set _ZN9rocsparseL23check_matrix_csr_deviceILj256ELj4E21rocsparse_complex_numIfEiiEEvT3_S3_T2_PKT1_PKS4_PKS3_SB_21rocsparse_index_base_22rocsparse_matrix_type_20rocsparse_fill_mode_23rocsparse_storage_mode_P22rocsparse_data_status_.num_named_barrier, 0
	.set _ZN9rocsparseL23check_matrix_csr_deviceILj256ELj4E21rocsparse_complex_numIfEiiEEvT3_S3_T2_PKT1_PKS4_PKS3_SB_21rocsparse_index_base_22rocsparse_matrix_type_20rocsparse_fill_mode_23rocsparse_storage_mode_P22rocsparse_data_status_.private_seg_size, 0
	.set _ZN9rocsparseL23check_matrix_csr_deviceILj256ELj4E21rocsparse_complex_numIfEiiEEvT3_S3_T2_PKT1_PKS4_PKS3_SB_21rocsparse_index_base_22rocsparse_matrix_type_20rocsparse_fill_mode_23rocsparse_storage_mode_P22rocsparse_data_status_.uses_vcc, 1
	.set _ZN9rocsparseL23check_matrix_csr_deviceILj256ELj4E21rocsparse_complex_numIfEiiEEvT3_S3_T2_PKT1_PKS4_PKS3_SB_21rocsparse_index_base_22rocsparse_matrix_type_20rocsparse_fill_mode_23rocsparse_storage_mode_P22rocsparse_data_status_.uses_flat_scratch, 0
	.set _ZN9rocsparseL23check_matrix_csr_deviceILj256ELj4E21rocsparse_complex_numIfEiiEEvT3_S3_T2_PKT1_PKS4_PKS3_SB_21rocsparse_index_base_22rocsparse_matrix_type_20rocsparse_fill_mode_23rocsparse_storage_mode_P22rocsparse_data_status_.has_dyn_sized_stack, 0
	.set _ZN9rocsparseL23check_matrix_csr_deviceILj256ELj4E21rocsparse_complex_numIfEiiEEvT3_S3_T2_PKT1_PKS4_PKS3_SB_21rocsparse_index_base_22rocsparse_matrix_type_20rocsparse_fill_mode_23rocsparse_storage_mode_P22rocsparse_data_status_.has_recursion, 0
	.set _ZN9rocsparseL23check_matrix_csr_deviceILj256ELj4E21rocsparse_complex_numIfEiiEEvT3_S3_T2_PKT1_PKS4_PKS3_SB_21rocsparse_index_base_22rocsparse_matrix_type_20rocsparse_fill_mode_23rocsparse_storage_mode_P22rocsparse_data_status_.has_indirect_call, 0
	.section	.AMDGPU.csdata,"",@progbits
; Kernel info:
; codeLenInByte = 1032
; TotalNumSgprs: 31
; NumVgprs: 10
; ScratchSize: 0
; MemoryBound: 0
; FloatMode: 240
; IeeeMode: 1
; LDSByteSize: 0 bytes/workgroup (compile time only)
; SGPRBlocks: 0
; VGPRBlocks: 0
; NumSGPRsForWavesPerEU: 31
; NumVGPRsForWavesPerEU: 10
; NamedBarCnt: 0
; Occupancy: 16
; WaveLimiterHint : 0
; COMPUTE_PGM_RSRC2:SCRATCH_EN: 0
; COMPUTE_PGM_RSRC2:USER_SGPR: 2
; COMPUTE_PGM_RSRC2:TRAP_HANDLER: 0
; COMPUTE_PGM_RSRC2:TGID_X_EN: 1
; COMPUTE_PGM_RSRC2:TGID_Y_EN: 0
; COMPUTE_PGM_RSRC2:TGID_Z_EN: 0
; COMPUTE_PGM_RSRC2:TIDIG_COMP_CNT: 0
	.section	.text._ZN9rocsparseL23check_matrix_csr_deviceILj256ELj8E21rocsparse_complex_numIfEiiEEvT3_S3_T2_PKT1_PKS4_PKS3_SB_21rocsparse_index_base_22rocsparse_matrix_type_20rocsparse_fill_mode_23rocsparse_storage_mode_P22rocsparse_data_status_,"axG",@progbits,_ZN9rocsparseL23check_matrix_csr_deviceILj256ELj8E21rocsparse_complex_numIfEiiEEvT3_S3_T2_PKT1_PKS4_PKS3_SB_21rocsparse_index_base_22rocsparse_matrix_type_20rocsparse_fill_mode_23rocsparse_storage_mode_P22rocsparse_data_status_,comdat
	.globl	_ZN9rocsparseL23check_matrix_csr_deviceILj256ELj8E21rocsparse_complex_numIfEiiEEvT3_S3_T2_PKT1_PKS4_PKS3_SB_21rocsparse_index_base_22rocsparse_matrix_type_20rocsparse_fill_mode_23rocsparse_storage_mode_P22rocsparse_data_status_ ; -- Begin function _ZN9rocsparseL23check_matrix_csr_deviceILj256ELj8E21rocsparse_complex_numIfEiiEEvT3_S3_T2_PKT1_PKS4_PKS3_SB_21rocsparse_index_base_22rocsparse_matrix_type_20rocsparse_fill_mode_23rocsparse_storage_mode_P22rocsparse_data_status_
	.p2align	8
	.type	_ZN9rocsparseL23check_matrix_csr_deviceILj256ELj8E21rocsparse_complex_numIfEiiEEvT3_S3_T2_PKT1_PKS4_PKS3_SB_21rocsparse_index_base_22rocsparse_matrix_type_20rocsparse_fill_mode_23rocsparse_storage_mode_P22rocsparse_data_status_,@function
_ZN9rocsparseL23check_matrix_csr_deviceILj256ELj8E21rocsparse_complex_numIfEiiEEvT3_S3_T2_PKT1_PKS4_PKS3_SB_21rocsparse_index_base_22rocsparse_matrix_type_20rocsparse_fill_mode_23rocsparse_storage_mode_P22rocsparse_data_status_: ; @_ZN9rocsparseL23check_matrix_csr_deviceILj256ELj8E21rocsparse_complex_numIfEiiEEvT3_S3_T2_PKT1_PKS4_PKS3_SB_21rocsparse_index_base_22rocsparse_matrix_type_20rocsparse_fill_mode_23rocsparse_storage_mode_P22rocsparse_data_status_
; %bb.0:
	s_bfe_u32 s2, ttmp6, 0x4000c
	s_load_b64 s[12:13], s[0:1], 0x0
	s_add_co_i32 s2, s2, 1
	s_and_b32 s3, ttmp6, 15
	s_mul_i32 s2, ttmp9, s2
	s_getreg_b32 s4, hwreg(HW_REG_IB_STS2, 6, 4)
	s_add_co_i32 s3, s3, s2
	s_cmp_eq_u32 s4, 0
	s_cselect_b32 s2, ttmp9, s3
	s_delay_alu instid0(SALU_CYCLE_1) | instskip(SKIP_1) | instid1(VALU_DEP_1)
	v_lshl_or_b32 v1, s2, 8, v0
	s_mov_b32 s2, exec_lo
	v_lshrrev_b32_e32 v4, 3, v1
	s_wait_kmcnt 0x0
	s_delay_alu instid0(VALU_DEP_1)
	v_cmpx_gt_i32_e64 s12, v4
	s_cbranch_execz .LBB17_31
; %bb.1:
	s_load_b64 s[2:3], s[0:1], 0x18
	v_dual_lshlrev_b32 v1, 2, v4 :: v_dual_mov_b32 v7, 3
	s_wait_kmcnt 0x0
	global_load_b64 v[2:3], v1, s[2:3]
	s_wait_xcnt 0x0
	s_load_b32 s2, s[2:3], 0x0
	s_wait_loadcnt 0x0
	s_wait_kmcnt 0x0
	v_subrev_nc_u32_e32 v5, s2, v3
	v_subrev_nc_u32_e32 v6, s2, v2
	v_cmp_lt_i32_e64 s2, v3, v2
	s_delay_alu instid0(VALU_DEP_3) | instskip(NEXT) | instid1(VALU_DEP_3)
	v_cmp_gt_i32_e32 vcc_lo, 0, v5
	v_cmp_lt_i32_e64 s3, -1, v6
	s_or_b32 s2, vcc_lo, s2
	s_delay_alu instid0(SALU_CYCLE_1) | instskip(SKIP_2) | instid1(SALU_CYCLE_1)
	s_xor_b32 s4, s2, -1
	s_mov_b32 s2, -1
	s_and_b32 s3, s3, s4
	s_and_saveexec_b32 s12, s3
	s_cbranch_execz .LBB17_29
; %bb.2:
	v_dual_mov_b32 v7, 3 :: v_dual_bitop2_b32 v0, 7, v0 bitop3:0x40
	s_mov_b32 s2, 0
	s_mov_b32 s16, exec_lo
	s_delay_alu instid0(VALU_DEP_1) | instskip(NEXT) | instid1(VALU_DEP_1)
	v_add_nc_u32_e32 v0, v6, v0
	v_cmpx_lt_u32_e64 v0, v5
	s_cbranch_execz .LBB17_28
; %bb.3:
	s_clause 0x1
	s_load_b256 s[4:11], s[0:1], 0x20
	s_load_b64 s[14:15], s[0:1], 0x10
                                        ; implicit-def: $sgpr18
                                        ; implicit-def: $sgpr19
                                        ; implicit-def: $sgpr20
	s_wait_kmcnt 0x0
	s_cmp_lg_u32 s9, 0
	s_cselect_b32 s9, -1, 0
	s_cmp_lg_u32 s10, 0
	s_cselect_b32 s10, -1, 0
	s_cmp_lg_u32 s11, 0
	s_mov_b32 s11, 0
	s_cselect_b32 s17, -1, 0
	s_branch .LBB17_10
.LBB17_4:                               ;   in Loop: Header=BB17_10 Depth=1
	s_or_b32 exec_lo, exec_lo, s27
	s_delay_alu instid0(SALU_CYCLE_1)
	s_or_not1_b32 s28, s3, exec_lo
	s_or_not1_b32 s2, s25, exec_lo
.LBB17_5:                               ;   in Loop: Header=BB17_10 Depth=1
	s_or_b32 exec_lo, exec_lo, s26
	s_delay_alu instid0(SALU_CYCLE_1)
	s_or_not1_b32 s3, s28, exec_lo
	s_or_not1_b32 s2, s2, exec_lo
.LBB17_6:                               ;   in Loop: Header=BB17_10 Depth=1
	s_or_b32 exec_lo, exec_lo, s24
	s_delay_alu instid0(SALU_CYCLE_1)
	s_or_not1_b32 s24, s3, exec_lo
	s_or_not1_b32 s3, s2, exec_lo
.LBB17_7:                               ;   in Loop: Header=BB17_10 Depth=1
	s_or_b32 exec_lo, exec_lo, s23
	s_delay_alu instid0(SALU_CYCLE_1)
	s_or_not1_b32 s23, s24, exec_lo
	s_or_not1_b32 s2, s3, exec_lo
.LBB17_8:                               ;   in Loop: Header=BB17_10 Depth=1
	s_or_b32 exec_lo, exec_lo, s22
	s_delay_alu instid0(SALU_CYCLE_1)
	s_and_not1_b32 s3, s20, exec_lo
	s_and_b32 s20, s23, exec_lo
	s_and_not1_b32 s19, s19, exec_lo
	s_and_b32 s2, s2, exec_lo
	s_or_b32 s20, s3, s20
	s_or_b32 s19, s19, s2
.LBB17_9:                               ;   in Loop: Header=BB17_10 Depth=1
	s_or_b32 exec_lo, exec_lo, s21
	s_delay_alu instid0(SALU_CYCLE_1) | instskip(NEXT) | instid1(SALU_CYCLE_1)
	s_and_b32 s2, exec_lo, s19
	s_or_b32 s11, s2, s11
	s_and_not1_b32 s2, s18, exec_lo
	s_and_b32 s3, s20, exec_lo
	s_delay_alu instid0(SALU_CYCLE_1)
	s_or_b32 s18, s2, s3
	s_and_not1_b32 exec_lo, exec_lo, s11
	s_cbranch_execz .LBB17_27
.LBB17_10:                              ; =>This Inner Loop Header: Depth=1
	global_load_b32 v8, v0, s[4:5] scale_offset
	v_mov_b32_e32 v7, 4
	s_or_b32 s20, s20, exec_lo
	s_or_b32 s19, s19, exec_lo
	s_wait_loadcnt 0x0
	v_subrev_nc_u32_e32 v9, s8, v8
	s_delay_alu instid0(VALU_DEP_1) | instskip(SKIP_2) | instid1(SALU_CYCLE_1)
	v_cmp_lt_i32_e32 vcc_lo, -1, v9
	v_cmp_gt_i32_e64 s2, s13, v9
	s_and_b32 s2, vcc_lo, s2
	s_and_saveexec_b32 s21, s2
	s_cbranch_execz .LBB17_9
; %bb.11:                               ;   in Loop: Header=BB17_10 Depth=1
	v_cmp_le_i32_e64 s25, v0, v6
	v_dual_ashrrev_i32 v1, 31, v0 :: v_dual_mov_b32 v7, 4
	s_mov_b32 s22, exec_lo
	s_mov_b32 s3, s25
	v_cmpx_gt_i32_e64 v0, v6
	s_cbranch_execz .LBB17_13
; %bb.12:                               ;   in Loop: Header=BB17_10 Depth=1
	v_lshl_add_u64 v[2:3], v[0:1], 2, s[6:7]
	global_load_b64 v[2:3], v[2:3], off offset:-4
	s_wait_loadcnt 0x0
	v_subrev_nc_u32_e32 v7, s8, v2
	v_cmp_ne_u32_e64 s3, v3, v2
	s_delay_alu instid0(VALU_DEP_2) | instskip(SKIP_3) | instid1(SALU_CYCLE_1)
	v_cmp_lt_i32_e32 vcc_lo, -1, v7
	v_cmp_gt_i32_e64 s2, s13, v7
	v_mov_b32_e32 v7, 5
	s_and_b32 s2, vcc_lo, s2
	s_xor_b32 s2, s2, -1
	s_delay_alu instid0(SALU_CYCLE_1) | instskip(SKIP_2) | instid1(SALU_CYCLE_1)
	s_or_b32 s2, s3, s2
	s_and_not1_b32 s3, s25, exec_lo
	s_and_b32 s2, s2, exec_lo
	s_or_b32 s3, s3, s2
.LBB17_13:                              ;   in Loop: Header=BB17_10 Depth=1
	s_or_b32 exec_lo, exec_lo, s22
	s_mov_b32 s2, -1
	s_mov_b32 s23, -1
	s_and_saveexec_b32 s22, s3
	s_cbranch_execz .LBB17_8
; %bb.14:                               ;   in Loop: Header=BB17_10 Depth=1
	v_lshl_add_u64 v[2:3], v[0:1], 3, s[14:15]
	v_mov_b32_e32 v7, 1
	s_mov_b32 s3, -1
	s_mov_b32 s24, -1
	global_load_b64 v[2:3], v[2:3], off
	s_wait_loadcnt 0x0
	v_cmp_neq_f32_e32 vcc_lo, 0x7f800000, v2
	v_cmp_neq_f32_e64 s2, 0x7f800000, v3
	s_and_b32 s2, vcc_lo, s2
	s_delay_alu instid0(SALU_CYCLE_1)
	s_and_saveexec_b32 s23, s2
	s_cbranch_execz .LBB17_7
; %bb.15:                               ;   in Loop: Header=BB17_10 Depth=1
	v_mov_b32_e32 v7, 2
	s_mov_b32 s2, -1
	s_mov_b32 s24, exec_lo
	v_cmpx_o_f32_e32 v2, v3
	s_cbranch_execz .LBB17_6
; %bb.16:                               ;   in Loop: Header=BB17_10 Depth=1
	s_and_b32 vcc_lo, exec_lo, s9
	s_cbranch_vccz .LBB17_19
; %bb.17:                               ;   in Loop: Header=BB17_10 Depth=1
	s_and_b32 vcc_lo, exec_lo, s10
	s_cbranch_vccz .LBB17_20
; %bb.18:                               ;   in Loop: Header=BB17_10 Depth=1
	v_cmp_le_i32_e32 vcc_lo, v4, v9
	s_mov_b32 s3, 7
	s_and_b32 s27, vcc_lo, exec_lo
	s_cbranch_execz .LBB17_21
	s_branch .LBB17_22
.LBB17_19:                              ;   in Loop: Header=BB17_10 Depth=1
	s_mov_b32 s3, 2
	s_mov_b32 s27, -1
	s_branch .LBB17_22
.LBB17_20:                              ;   in Loop: Header=BB17_10 Depth=1
	s_mov_b32 s27, 0
	s_mov_b32 s3, 2
.LBB17_21:                              ;   in Loop: Header=BB17_10 Depth=1
	v_cmp_ge_i32_e32 vcc_lo, v4, v9
	s_and_not1_b32 s26, s27, exec_lo
	s_mov_b32 s3, 7
	s_and_b32 s27, vcc_lo, exec_lo
	s_delay_alu instid0(SALU_CYCLE_1)
	s_or_b32 s27, s26, s27
.LBB17_22:                              ;   in Loop: Header=BB17_10 Depth=1
	v_mov_b32_e32 v7, s3
	s_mov_b32 s28, -1
	s_and_saveexec_b32 s26, s27
	s_cbranch_execz .LBB17_5
; %bb.23:                               ;   in Loop: Header=BB17_10 Depth=1
	v_mov_b32_e32 v7, s3
	s_nor_b32 s3, s17, s25
	s_mov_b32 s25, -1
	s_and_saveexec_b32 s27, s3
	s_cbranch_execz .LBB17_25
; %bb.24:                               ;   in Loop: Header=BB17_10 Depth=1
	v_lshl_add_u64 v[2:3], v[0:1], 2, s[4:5]
	v_mov_b32_e32 v7, 6
	global_load_b32 v1, v[2:3], off offset:-4
	s_wait_loadcnt 0x0
	v_subrev_nc_u32_e32 v2, s8, v1
	v_cmp_gt_i32_e64 s3, v8, v1
	s_delay_alu instid0(VALU_DEP_2) | instskip(SKIP_2) | instid1(SALU_CYCLE_1)
	v_cmp_lt_i32_e32 vcc_lo, -1, v2
	v_cmp_gt_i32_e64 s2, s13, v2
	s_and_b32 s2, vcc_lo, s2
	s_xor_b32 s2, s2, -1
	s_delay_alu instid0(SALU_CYCLE_1) | instskip(NEXT) | instid1(SALU_CYCLE_1)
	s_or_b32 s2, s3, s2
	s_or_not1_b32 s2, s2, exec_lo
.LBB17_25:                              ;   in Loop: Header=BB17_10 Depth=1
	s_or_b32 exec_lo, exec_lo, s27
	s_mov_b32 s3, -1
	s_and_saveexec_b32 s27, s2
	s_cbranch_execz .LBB17_4
; %bb.26:                               ;   in Loop: Header=BB17_10 Depth=1
	v_add_nc_u32_e32 v0, 8, v0
	s_xor_b32 s3, exec_lo, -1
	s_delay_alu instid0(VALU_DEP_1)
	v_cmp_ge_i32_e32 vcc_lo, v0, v5
	s_or_not1_b32 s25, vcc_lo, exec_lo
	s_branch .LBB17_4
.LBB17_27:
	s_or_b32 exec_lo, exec_lo, s11
	s_delay_alu instid0(SALU_CYCLE_1)
	s_and_b32 s2, s18, exec_lo
.LBB17_28:
	s_or_b32 exec_lo, exec_lo, s16
	s_delay_alu instid0(SALU_CYCLE_1)
	s_or_not1_b32 s2, s2, exec_lo
.LBB17_29:
	s_or_b32 exec_lo, exec_lo, s12
	s_delay_alu instid0(SALU_CYCLE_1)
	s_and_b32 exec_lo, exec_lo, s2
	s_cbranch_execz .LBB17_31
; %bb.30:
	s_load_b64 s[0:1], s[0:1], 0x40
	v_mov_b32_e32 v0, 0
	s_wait_kmcnt 0x0
	global_store_b32 v0, v7, s[0:1]
.LBB17_31:
	s_endpgm
	.section	.rodata,"a",@progbits
	.p2align	6, 0x0
	.amdhsa_kernel _ZN9rocsparseL23check_matrix_csr_deviceILj256ELj8E21rocsparse_complex_numIfEiiEEvT3_S3_T2_PKT1_PKS4_PKS3_SB_21rocsparse_index_base_22rocsparse_matrix_type_20rocsparse_fill_mode_23rocsparse_storage_mode_P22rocsparse_data_status_
		.amdhsa_group_segment_fixed_size 0
		.amdhsa_private_segment_fixed_size 0
		.amdhsa_kernarg_size 72
		.amdhsa_user_sgpr_count 2
		.amdhsa_user_sgpr_dispatch_ptr 0
		.amdhsa_user_sgpr_queue_ptr 0
		.amdhsa_user_sgpr_kernarg_segment_ptr 1
		.amdhsa_user_sgpr_dispatch_id 0
		.amdhsa_user_sgpr_kernarg_preload_length 0
		.amdhsa_user_sgpr_kernarg_preload_offset 0
		.amdhsa_user_sgpr_private_segment_size 0
		.amdhsa_wavefront_size32 1
		.amdhsa_uses_dynamic_stack 0
		.amdhsa_enable_private_segment 0
		.amdhsa_system_sgpr_workgroup_id_x 1
		.amdhsa_system_sgpr_workgroup_id_y 0
		.amdhsa_system_sgpr_workgroup_id_z 0
		.amdhsa_system_sgpr_workgroup_info 0
		.amdhsa_system_vgpr_workitem_id 0
		.amdhsa_next_free_vgpr 10
		.amdhsa_next_free_sgpr 29
		.amdhsa_named_barrier_count 0
		.amdhsa_reserve_vcc 1
		.amdhsa_float_round_mode_32 0
		.amdhsa_float_round_mode_16_64 0
		.amdhsa_float_denorm_mode_32 3
		.amdhsa_float_denorm_mode_16_64 3
		.amdhsa_fp16_overflow 0
		.amdhsa_memory_ordered 1
		.amdhsa_forward_progress 1
		.amdhsa_inst_pref_size 9
		.amdhsa_round_robin_scheduling 0
		.amdhsa_exception_fp_ieee_invalid_op 0
		.amdhsa_exception_fp_denorm_src 0
		.amdhsa_exception_fp_ieee_div_zero 0
		.amdhsa_exception_fp_ieee_overflow 0
		.amdhsa_exception_fp_ieee_underflow 0
		.amdhsa_exception_fp_ieee_inexact 0
		.amdhsa_exception_int_div_zero 0
	.end_amdhsa_kernel
	.section	.text._ZN9rocsparseL23check_matrix_csr_deviceILj256ELj8E21rocsparse_complex_numIfEiiEEvT3_S3_T2_PKT1_PKS4_PKS3_SB_21rocsparse_index_base_22rocsparse_matrix_type_20rocsparse_fill_mode_23rocsparse_storage_mode_P22rocsparse_data_status_,"axG",@progbits,_ZN9rocsparseL23check_matrix_csr_deviceILj256ELj8E21rocsparse_complex_numIfEiiEEvT3_S3_T2_PKT1_PKS4_PKS3_SB_21rocsparse_index_base_22rocsparse_matrix_type_20rocsparse_fill_mode_23rocsparse_storage_mode_P22rocsparse_data_status_,comdat
.Lfunc_end17:
	.size	_ZN9rocsparseL23check_matrix_csr_deviceILj256ELj8E21rocsparse_complex_numIfEiiEEvT3_S3_T2_PKT1_PKS4_PKS3_SB_21rocsparse_index_base_22rocsparse_matrix_type_20rocsparse_fill_mode_23rocsparse_storage_mode_P22rocsparse_data_status_, .Lfunc_end17-_ZN9rocsparseL23check_matrix_csr_deviceILj256ELj8E21rocsparse_complex_numIfEiiEEvT3_S3_T2_PKT1_PKS4_PKS3_SB_21rocsparse_index_base_22rocsparse_matrix_type_20rocsparse_fill_mode_23rocsparse_storage_mode_P22rocsparse_data_status_
                                        ; -- End function
	.set _ZN9rocsparseL23check_matrix_csr_deviceILj256ELj8E21rocsparse_complex_numIfEiiEEvT3_S3_T2_PKT1_PKS4_PKS3_SB_21rocsparse_index_base_22rocsparse_matrix_type_20rocsparse_fill_mode_23rocsparse_storage_mode_P22rocsparse_data_status_.num_vgpr, 10
	.set _ZN9rocsparseL23check_matrix_csr_deviceILj256ELj8E21rocsparse_complex_numIfEiiEEvT3_S3_T2_PKT1_PKS4_PKS3_SB_21rocsparse_index_base_22rocsparse_matrix_type_20rocsparse_fill_mode_23rocsparse_storage_mode_P22rocsparse_data_status_.num_agpr, 0
	.set _ZN9rocsparseL23check_matrix_csr_deviceILj256ELj8E21rocsparse_complex_numIfEiiEEvT3_S3_T2_PKT1_PKS4_PKS3_SB_21rocsparse_index_base_22rocsparse_matrix_type_20rocsparse_fill_mode_23rocsparse_storage_mode_P22rocsparse_data_status_.numbered_sgpr, 29
	.set _ZN9rocsparseL23check_matrix_csr_deviceILj256ELj8E21rocsparse_complex_numIfEiiEEvT3_S3_T2_PKT1_PKS4_PKS3_SB_21rocsparse_index_base_22rocsparse_matrix_type_20rocsparse_fill_mode_23rocsparse_storage_mode_P22rocsparse_data_status_.num_named_barrier, 0
	.set _ZN9rocsparseL23check_matrix_csr_deviceILj256ELj8E21rocsparse_complex_numIfEiiEEvT3_S3_T2_PKT1_PKS4_PKS3_SB_21rocsparse_index_base_22rocsparse_matrix_type_20rocsparse_fill_mode_23rocsparse_storage_mode_P22rocsparse_data_status_.private_seg_size, 0
	.set _ZN9rocsparseL23check_matrix_csr_deviceILj256ELj8E21rocsparse_complex_numIfEiiEEvT3_S3_T2_PKT1_PKS4_PKS3_SB_21rocsparse_index_base_22rocsparse_matrix_type_20rocsparse_fill_mode_23rocsparse_storage_mode_P22rocsparse_data_status_.uses_vcc, 1
	.set _ZN9rocsparseL23check_matrix_csr_deviceILj256ELj8E21rocsparse_complex_numIfEiiEEvT3_S3_T2_PKT1_PKS4_PKS3_SB_21rocsparse_index_base_22rocsparse_matrix_type_20rocsparse_fill_mode_23rocsparse_storage_mode_P22rocsparse_data_status_.uses_flat_scratch, 0
	.set _ZN9rocsparseL23check_matrix_csr_deviceILj256ELj8E21rocsparse_complex_numIfEiiEEvT3_S3_T2_PKT1_PKS4_PKS3_SB_21rocsparse_index_base_22rocsparse_matrix_type_20rocsparse_fill_mode_23rocsparse_storage_mode_P22rocsparse_data_status_.has_dyn_sized_stack, 0
	.set _ZN9rocsparseL23check_matrix_csr_deviceILj256ELj8E21rocsparse_complex_numIfEiiEEvT3_S3_T2_PKT1_PKS4_PKS3_SB_21rocsparse_index_base_22rocsparse_matrix_type_20rocsparse_fill_mode_23rocsparse_storage_mode_P22rocsparse_data_status_.has_recursion, 0
	.set _ZN9rocsparseL23check_matrix_csr_deviceILj256ELj8E21rocsparse_complex_numIfEiiEEvT3_S3_T2_PKT1_PKS4_PKS3_SB_21rocsparse_index_base_22rocsparse_matrix_type_20rocsparse_fill_mode_23rocsparse_storage_mode_P22rocsparse_data_status_.has_indirect_call, 0
	.section	.AMDGPU.csdata,"",@progbits
; Kernel info:
; codeLenInByte = 1032
; TotalNumSgprs: 31
; NumVgprs: 10
; ScratchSize: 0
; MemoryBound: 0
; FloatMode: 240
; IeeeMode: 1
; LDSByteSize: 0 bytes/workgroup (compile time only)
; SGPRBlocks: 0
; VGPRBlocks: 0
; NumSGPRsForWavesPerEU: 31
; NumVGPRsForWavesPerEU: 10
; NamedBarCnt: 0
; Occupancy: 16
; WaveLimiterHint : 0
; COMPUTE_PGM_RSRC2:SCRATCH_EN: 0
; COMPUTE_PGM_RSRC2:USER_SGPR: 2
; COMPUTE_PGM_RSRC2:TRAP_HANDLER: 0
; COMPUTE_PGM_RSRC2:TGID_X_EN: 1
; COMPUTE_PGM_RSRC2:TGID_Y_EN: 0
; COMPUTE_PGM_RSRC2:TGID_Z_EN: 0
; COMPUTE_PGM_RSRC2:TIDIG_COMP_CNT: 0
	.section	.text._ZN9rocsparseL23check_matrix_csr_deviceILj256ELj16E21rocsparse_complex_numIfEiiEEvT3_S3_T2_PKT1_PKS4_PKS3_SB_21rocsparse_index_base_22rocsparse_matrix_type_20rocsparse_fill_mode_23rocsparse_storage_mode_P22rocsparse_data_status_,"axG",@progbits,_ZN9rocsparseL23check_matrix_csr_deviceILj256ELj16E21rocsparse_complex_numIfEiiEEvT3_S3_T2_PKT1_PKS4_PKS3_SB_21rocsparse_index_base_22rocsparse_matrix_type_20rocsparse_fill_mode_23rocsparse_storage_mode_P22rocsparse_data_status_,comdat
	.globl	_ZN9rocsparseL23check_matrix_csr_deviceILj256ELj16E21rocsparse_complex_numIfEiiEEvT3_S3_T2_PKT1_PKS4_PKS3_SB_21rocsparse_index_base_22rocsparse_matrix_type_20rocsparse_fill_mode_23rocsparse_storage_mode_P22rocsparse_data_status_ ; -- Begin function _ZN9rocsparseL23check_matrix_csr_deviceILj256ELj16E21rocsparse_complex_numIfEiiEEvT3_S3_T2_PKT1_PKS4_PKS3_SB_21rocsparse_index_base_22rocsparse_matrix_type_20rocsparse_fill_mode_23rocsparse_storage_mode_P22rocsparse_data_status_
	.p2align	8
	.type	_ZN9rocsparseL23check_matrix_csr_deviceILj256ELj16E21rocsparse_complex_numIfEiiEEvT3_S3_T2_PKT1_PKS4_PKS3_SB_21rocsparse_index_base_22rocsparse_matrix_type_20rocsparse_fill_mode_23rocsparse_storage_mode_P22rocsparse_data_status_,@function
_ZN9rocsparseL23check_matrix_csr_deviceILj256ELj16E21rocsparse_complex_numIfEiiEEvT3_S3_T2_PKT1_PKS4_PKS3_SB_21rocsparse_index_base_22rocsparse_matrix_type_20rocsparse_fill_mode_23rocsparse_storage_mode_P22rocsparse_data_status_: ; @_ZN9rocsparseL23check_matrix_csr_deviceILj256ELj16E21rocsparse_complex_numIfEiiEEvT3_S3_T2_PKT1_PKS4_PKS3_SB_21rocsparse_index_base_22rocsparse_matrix_type_20rocsparse_fill_mode_23rocsparse_storage_mode_P22rocsparse_data_status_
; %bb.0:
	s_bfe_u32 s2, ttmp6, 0x4000c
	s_load_b64 s[12:13], s[0:1], 0x0
	s_add_co_i32 s2, s2, 1
	s_and_b32 s3, ttmp6, 15
	s_mul_i32 s2, ttmp9, s2
	s_getreg_b32 s4, hwreg(HW_REG_IB_STS2, 6, 4)
	s_add_co_i32 s3, s3, s2
	s_cmp_eq_u32 s4, 0
	s_cselect_b32 s2, ttmp9, s3
	s_delay_alu instid0(SALU_CYCLE_1) | instskip(SKIP_1) | instid1(VALU_DEP_1)
	v_lshl_or_b32 v1, s2, 8, v0
	s_mov_b32 s2, exec_lo
	v_lshrrev_b32_e32 v4, 4, v1
	s_wait_kmcnt 0x0
	s_delay_alu instid0(VALU_DEP_1)
	v_cmpx_gt_i32_e64 s12, v4
	s_cbranch_execz .LBB18_31
; %bb.1:
	s_load_b64 s[2:3], s[0:1], 0x18
	v_dual_lshlrev_b32 v1, 2, v4 :: v_dual_mov_b32 v7, 3
	s_wait_kmcnt 0x0
	global_load_b64 v[2:3], v1, s[2:3]
	s_wait_xcnt 0x0
	s_load_b32 s2, s[2:3], 0x0
	s_wait_loadcnt 0x0
	s_wait_kmcnt 0x0
	v_subrev_nc_u32_e32 v5, s2, v3
	v_subrev_nc_u32_e32 v6, s2, v2
	v_cmp_lt_i32_e64 s2, v3, v2
	s_delay_alu instid0(VALU_DEP_3) | instskip(NEXT) | instid1(VALU_DEP_3)
	v_cmp_gt_i32_e32 vcc_lo, 0, v5
	v_cmp_lt_i32_e64 s3, -1, v6
	s_or_b32 s2, vcc_lo, s2
	s_delay_alu instid0(SALU_CYCLE_1) | instskip(SKIP_2) | instid1(SALU_CYCLE_1)
	s_xor_b32 s4, s2, -1
	s_mov_b32 s2, -1
	s_and_b32 s3, s3, s4
	s_and_saveexec_b32 s12, s3
	s_cbranch_execz .LBB18_29
; %bb.2:
	v_dual_mov_b32 v7, 3 :: v_dual_bitop2_b32 v0, 15, v0 bitop3:0x40
	s_mov_b32 s2, 0
	s_mov_b32 s16, exec_lo
	s_delay_alu instid0(VALU_DEP_1) | instskip(NEXT) | instid1(VALU_DEP_1)
	v_add_nc_u32_e32 v0, v6, v0
	v_cmpx_lt_u32_e64 v0, v5
	s_cbranch_execz .LBB18_28
; %bb.3:
	s_clause 0x1
	s_load_b256 s[4:11], s[0:1], 0x20
	s_load_b64 s[14:15], s[0:1], 0x10
                                        ; implicit-def: $sgpr18
                                        ; implicit-def: $sgpr19
                                        ; implicit-def: $sgpr20
	s_wait_kmcnt 0x0
	s_cmp_lg_u32 s9, 0
	s_cselect_b32 s9, -1, 0
	s_cmp_lg_u32 s10, 0
	s_cselect_b32 s10, -1, 0
	s_cmp_lg_u32 s11, 0
	s_mov_b32 s11, 0
	s_cselect_b32 s17, -1, 0
	s_branch .LBB18_10
.LBB18_4:                               ;   in Loop: Header=BB18_10 Depth=1
	s_or_b32 exec_lo, exec_lo, s27
	s_delay_alu instid0(SALU_CYCLE_1)
	s_or_not1_b32 s28, s3, exec_lo
	s_or_not1_b32 s2, s25, exec_lo
.LBB18_5:                               ;   in Loop: Header=BB18_10 Depth=1
	s_or_b32 exec_lo, exec_lo, s26
	s_delay_alu instid0(SALU_CYCLE_1)
	s_or_not1_b32 s3, s28, exec_lo
	s_or_not1_b32 s2, s2, exec_lo
.LBB18_6:                               ;   in Loop: Header=BB18_10 Depth=1
	s_or_b32 exec_lo, exec_lo, s24
	s_delay_alu instid0(SALU_CYCLE_1)
	s_or_not1_b32 s24, s3, exec_lo
	s_or_not1_b32 s3, s2, exec_lo
.LBB18_7:                               ;   in Loop: Header=BB18_10 Depth=1
	s_or_b32 exec_lo, exec_lo, s23
	s_delay_alu instid0(SALU_CYCLE_1)
	s_or_not1_b32 s23, s24, exec_lo
	s_or_not1_b32 s2, s3, exec_lo
.LBB18_8:                               ;   in Loop: Header=BB18_10 Depth=1
	s_or_b32 exec_lo, exec_lo, s22
	s_delay_alu instid0(SALU_CYCLE_1)
	s_and_not1_b32 s3, s20, exec_lo
	s_and_b32 s20, s23, exec_lo
	s_and_not1_b32 s19, s19, exec_lo
	s_and_b32 s2, s2, exec_lo
	s_or_b32 s20, s3, s20
	s_or_b32 s19, s19, s2
.LBB18_9:                               ;   in Loop: Header=BB18_10 Depth=1
	s_or_b32 exec_lo, exec_lo, s21
	s_delay_alu instid0(SALU_CYCLE_1) | instskip(NEXT) | instid1(SALU_CYCLE_1)
	s_and_b32 s2, exec_lo, s19
	s_or_b32 s11, s2, s11
	s_and_not1_b32 s2, s18, exec_lo
	s_and_b32 s3, s20, exec_lo
	s_delay_alu instid0(SALU_CYCLE_1)
	s_or_b32 s18, s2, s3
	s_and_not1_b32 exec_lo, exec_lo, s11
	s_cbranch_execz .LBB18_27
.LBB18_10:                              ; =>This Inner Loop Header: Depth=1
	global_load_b32 v8, v0, s[4:5] scale_offset
	v_mov_b32_e32 v7, 4
	s_or_b32 s20, s20, exec_lo
	s_or_b32 s19, s19, exec_lo
	s_wait_loadcnt 0x0
	v_subrev_nc_u32_e32 v9, s8, v8
	s_delay_alu instid0(VALU_DEP_1) | instskip(SKIP_2) | instid1(SALU_CYCLE_1)
	v_cmp_lt_i32_e32 vcc_lo, -1, v9
	v_cmp_gt_i32_e64 s2, s13, v9
	s_and_b32 s2, vcc_lo, s2
	s_and_saveexec_b32 s21, s2
	s_cbranch_execz .LBB18_9
; %bb.11:                               ;   in Loop: Header=BB18_10 Depth=1
	v_cmp_le_i32_e64 s25, v0, v6
	v_dual_ashrrev_i32 v1, 31, v0 :: v_dual_mov_b32 v7, 4
	s_mov_b32 s22, exec_lo
	s_mov_b32 s3, s25
	v_cmpx_gt_i32_e64 v0, v6
	s_cbranch_execz .LBB18_13
; %bb.12:                               ;   in Loop: Header=BB18_10 Depth=1
	v_lshl_add_u64 v[2:3], v[0:1], 2, s[6:7]
	global_load_b64 v[2:3], v[2:3], off offset:-4
	s_wait_loadcnt 0x0
	v_subrev_nc_u32_e32 v7, s8, v2
	v_cmp_ne_u32_e64 s3, v3, v2
	s_delay_alu instid0(VALU_DEP_2) | instskip(SKIP_3) | instid1(SALU_CYCLE_1)
	v_cmp_lt_i32_e32 vcc_lo, -1, v7
	v_cmp_gt_i32_e64 s2, s13, v7
	v_mov_b32_e32 v7, 5
	s_and_b32 s2, vcc_lo, s2
	s_xor_b32 s2, s2, -1
	s_delay_alu instid0(SALU_CYCLE_1) | instskip(SKIP_2) | instid1(SALU_CYCLE_1)
	s_or_b32 s2, s3, s2
	s_and_not1_b32 s3, s25, exec_lo
	s_and_b32 s2, s2, exec_lo
	s_or_b32 s3, s3, s2
.LBB18_13:                              ;   in Loop: Header=BB18_10 Depth=1
	s_or_b32 exec_lo, exec_lo, s22
	s_mov_b32 s2, -1
	s_mov_b32 s23, -1
	s_and_saveexec_b32 s22, s3
	s_cbranch_execz .LBB18_8
; %bb.14:                               ;   in Loop: Header=BB18_10 Depth=1
	v_lshl_add_u64 v[2:3], v[0:1], 3, s[14:15]
	v_mov_b32_e32 v7, 1
	s_mov_b32 s3, -1
	s_mov_b32 s24, -1
	global_load_b64 v[2:3], v[2:3], off
	s_wait_loadcnt 0x0
	v_cmp_neq_f32_e32 vcc_lo, 0x7f800000, v2
	v_cmp_neq_f32_e64 s2, 0x7f800000, v3
	s_and_b32 s2, vcc_lo, s2
	s_delay_alu instid0(SALU_CYCLE_1)
	s_and_saveexec_b32 s23, s2
	s_cbranch_execz .LBB18_7
; %bb.15:                               ;   in Loop: Header=BB18_10 Depth=1
	v_mov_b32_e32 v7, 2
	s_mov_b32 s2, -1
	s_mov_b32 s24, exec_lo
	v_cmpx_o_f32_e32 v2, v3
	s_cbranch_execz .LBB18_6
; %bb.16:                               ;   in Loop: Header=BB18_10 Depth=1
	s_and_b32 vcc_lo, exec_lo, s9
	s_cbranch_vccz .LBB18_19
; %bb.17:                               ;   in Loop: Header=BB18_10 Depth=1
	s_and_b32 vcc_lo, exec_lo, s10
	s_cbranch_vccz .LBB18_20
; %bb.18:                               ;   in Loop: Header=BB18_10 Depth=1
	v_cmp_le_i32_e32 vcc_lo, v4, v9
	s_mov_b32 s3, 7
	s_and_b32 s27, vcc_lo, exec_lo
	s_cbranch_execz .LBB18_21
	s_branch .LBB18_22
.LBB18_19:                              ;   in Loop: Header=BB18_10 Depth=1
	s_mov_b32 s3, 2
	s_mov_b32 s27, -1
	s_branch .LBB18_22
.LBB18_20:                              ;   in Loop: Header=BB18_10 Depth=1
	s_mov_b32 s27, 0
	s_mov_b32 s3, 2
.LBB18_21:                              ;   in Loop: Header=BB18_10 Depth=1
	v_cmp_ge_i32_e32 vcc_lo, v4, v9
	s_and_not1_b32 s26, s27, exec_lo
	s_mov_b32 s3, 7
	s_and_b32 s27, vcc_lo, exec_lo
	s_delay_alu instid0(SALU_CYCLE_1)
	s_or_b32 s27, s26, s27
.LBB18_22:                              ;   in Loop: Header=BB18_10 Depth=1
	v_mov_b32_e32 v7, s3
	s_mov_b32 s28, -1
	s_and_saveexec_b32 s26, s27
	s_cbranch_execz .LBB18_5
; %bb.23:                               ;   in Loop: Header=BB18_10 Depth=1
	v_mov_b32_e32 v7, s3
	s_nor_b32 s3, s17, s25
	s_mov_b32 s25, -1
	s_and_saveexec_b32 s27, s3
	s_cbranch_execz .LBB18_25
; %bb.24:                               ;   in Loop: Header=BB18_10 Depth=1
	v_lshl_add_u64 v[2:3], v[0:1], 2, s[4:5]
	v_mov_b32_e32 v7, 6
	global_load_b32 v1, v[2:3], off offset:-4
	s_wait_loadcnt 0x0
	v_subrev_nc_u32_e32 v2, s8, v1
	v_cmp_gt_i32_e64 s3, v8, v1
	s_delay_alu instid0(VALU_DEP_2) | instskip(SKIP_2) | instid1(SALU_CYCLE_1)
	v_cmp_lt_i32_e32 vcc_lo, -1, v2
	v_cmp_gt_i32_e64 s2, s13, v2
	s_and_b32 s2, vcc_lo, s2
	s_xor_b32 s2, s2, -1
	s_delay_alu instid0(SALU_CYCLE_1) | instskip(NEXT) | instid1(SALU_CYCLE_1)
	s_or_b32 s2, s3, s2
	s_or_not1_b32 s2, s2, exec_lo
.LBB18_25:                              ;   in Loop: Header=BB18_10 Depth=1
	s_or_b32 exec_lo, exec_lo, s27
	s_mov_b32 s3, -1
	s_and_saveexec_b32 s27, s2
	s_cbranch_execz .LBB18_4
; %bb.26:                               ;   in Loop: Header=BB18_10 Depth=1
	v_add_nc_u32_e32 v0, 16, v0
	s_xor_b32 s3, exec_lo, -1
	s_delay_alu instid0(VALU_DEP_1)
	v_cmp_ge_i32_e32 vcc_lo, v0, v5
	s_or_not1_b32 s25, vcc_lo, exec_lo
	s_branch .LBB18_4
.LBB18_27:
	s_or_b32 exec_lo, exec_lo, s11
	s_delay_alu instid0(SALU_CYCLE_1)
	s_and_b32 s2, s18, exec_lo
.LBB18_28:
	s_or_b32 exec_lo, exec_lo, s16
	s_delay_alu instid0(SALU_CYCLE_1)
	s_or_not1_b32 s2, s2, exec_lo
.LBB18_29:
	s_or_b32 exec_lo, exec_lo, s12
	s_delay_alu instid0(SALU_CYCLE_1)
	s_and_b32 exec_lo, exec_lo, s2
	s_cbranch_execz .LBB18_31
; %bb.30:
	s_load_b64 s[0:1], s[0:1], 0x40
	v_mov_b32_e32 v0, 0
	s_wait_kmcnt 0x0
	global_store_b32 v0, v7, s[0:1]
.LBB18_31:
	s_endpgm
	.section	.rodata,"a",@progbits
	.p2align	6, 0x0
	.amdhsa_kernel _ZN9rocsparseL23check_matrix_csr_deviceILj256ELj16E21rocsparse_complex_numIfEiiEEvT3_S3_T2_PKT1_PKS4_PKS3_SB_21rocsparse_index_base_22rocsparse_matrix_type_20rocsparse_fill_mode_23rocsparse_storage_mode_P22rocsparse_data_status_
		.amdhsa_group_segment_fixed_size 0
		.amdhsa_private_segment_fixed_size 0
		.amdhsa_kernarg_size 72
		.amdhsa_user_sgpr_count 2
		.amdhsa_user_sgpr_dispatch_ptr 0
		.amdhsa_user_sgpr_queue_ptr 0
		.amdhsa_user_sgpr_kernarg_segment_ptr 1
		.amdhsa_user_sgpr_dispatch_id 0
		.amdhsa_user_sgpr_kernarg_preload_length 0
		.amdhsa_user_sgpr_kernarg_preload_offset 0
		.amdhsa_user_sgpr_private_segment_size 0
		.amdhsa_wavefront_size32 1
		.amdhsa_uses_dynamic_stack 0
		.amdhsa_enable_private_segment 0
		.amdhsa_system_sgpr_workgroup_id_x 1
		.amdhsa_system_sgpr_workgroup_id_y 0
		.amdhsa_system_sgpr_workgroup_id_z 0
		.amdhsa_system_sgpr_workgroup_info 0
		.amdhsa_system_vgpr_workitem_id 0
		.amdhsa_next_free_vgpr 10
		.amdhsa_next_free_sgpr 29
		.amdhsa_named_barrier_count 0
		.amdhsa_reserve_vcc 1
		.amdhsa_float_round_mode_32 0
		.amdhsa_float_round_mode_16_64 0
		.amdhsa_float_denorm_mode_32 3
		.amdhsa_float_denorm_mode_16_64 3
		.amdhsa_fp16_overflow 0
		.amdhsa_memory_ordered 1
		.amdhsa_forward_progress 1
		.amdhsa_inst_pref_size 9
		.amdhsa_round_robin_scheduling 0
		.amdhsa_exception_fp_ieee_invalid_op 0
		.amdhsa_exception_fp_denorm_src 0
		.amdhsa_exception_fp_ieee_div_zero 0
		.amdhsa_exception_fp_ieee_overflow 0
		.amdhsa_exception_fp_ieee_underflow 0
		.amdhsa_exception_fp_ieee_inexact 0
		.amdhsa_exception_int_div_zero 0
	.end_amdhsa_kernel
	.section	.text._ZN9rocsparseL23check_matrix_csr_deviceILj256ELj16E21rocsparse_complex_numIfEiiEEvT3_S3_T2_PKT1_PKS4_PKS3_SB_21rocsparse_index_base_22rocsparse_matrix_type_20rocsparse_fill_mode_23rocsparse_storage_mode_P22rocsparse_data_status_,"axG",@progbits,_ZN9rocsparseL23check_matrix_csr_deviceILj256ELj16E21rocsparse_complex_numIfEiiEEvT3_S3_T2_PKT1_PKS4_PKS3_SB_21rocsparse_index_base_22rocsparse_matrix_type_20rocsparse_fill_mode_23rocsparse_storage_mode_P22rocsparse_data_status_,comdat
.Lfunc_end18:
	.size	_ZN9rocsparseL23check_matrix_csr_deviceILj256ELj16E21rocsparse_complex_numIfEiiEEvT3_S3_T2_PKT1_PKS4_PKS3_SB_21rocsparse_index_base_22rocsparse_matrix_type_20rocsparse_fill_mode_23rocsparse_storage_mode_P22rocsparse_data_status_, .Lfunc_end18-_ZN9rocsparseL23check_matrix_csr_deviceILj256ELj16E21rocsparse_complex_numIfEiiEEvT3_S3_T2_PKT1_PKS4_PKS3_SB_21rocsparse_index_base_22rocsparse_matrix_type_20rocsparse_fill_mode_23rocsparse_storage_mode_P22rocsparse_data_status_
                                        ; -- End function
	.set _ZN9rocsparseL23check_matrix_csr_deviceILj256ELj16E21rocsparse_complex_numIfEiiEEvT3_S3_T2_PKT1_PKS4_PKS3_SB_21rocsparse_index_base_22rocsparse_matrix_type_20rocsparse_fill_mode_23rocsparse_storage_mode_P22rocsparse_data_status_.num_vgpr, 10
	.set _ZN9rocsparseL23check_matrix_csr_deviceILj256ELj16E21rocsparse_complex_numIfEiiEEvT3_S3_T2_PKT1_PKS4_PKS3_SB_21rocsparse_index_base_22rocsparse_matrix_type_20rocsparse_fill_mode_23rocsparse_storage_mode_P22rocsparse_data_status_.num_agpr, 0
	.set _ZN9rocsparseL23check_matrix_csr_deviceILj256ELj16E21rocsparse_complex_numIfEiiEEvT3_S3_T2_PKT1_PKS4_PKS3_SB_21rocsparse_index_base_22rocsparse_matrix_type_20rocsparse_fill_mode_23rocsparse_storage_mode_P22rocsparse_data_status_.numbered_sgpr, 29
	.set _ZN9rocsparseL23check_matrix_csr_deviceILj256ELj16E21rocsparse_complex_numIfEiiEEvT3_S3_T2_PKT1_PKS4_PKS3_SB_21rocsparse_index_base_22rocsparse_matrix_type_20rocsparse_fill_mode_23rocsparse_storage_mode_P22rocsparse_data_status_.num_named_barrier, 0
	.set _ZN9rocsparseL23check_matrix_csr_deviceILj256ELj16E21rocsparse_complex_numIfEiiEEvT3_S3_T2_PKT1_PKS4_PKS3_SB_21rocsparse_index_base_22rocsparse_matrix_type_20rocsparse_fill_mode_23rocsparse_storage_mode_P22rocsparse_data_status_.private_seg_size, 0
	.set _ZN9rocsparseL23check_matrix_csr_deviceILj256ELj16E21rocsparse_complex_numIfEiiEEvT3_S3_T2_PKT1_PKS4_PKS3_SB_21rocsparse_index_base_22rocsparse_matrix_type_20rocsparse_fill_mode_23rocsparse_storage_mode_P22rocsparse_data_status_.uses_vcc, 1
	.set _ZN9rocsparseL23check_matrix_csr_deviceILj256ELj16E21rocsparse_complex_numIfEiiEEvT3_S3_T2_PKT1_PKS4_PKS3_SB_21rocsparse_index_base_22rocsparse_matrix_type_20rocsparse_fill_mode_23rocsparse_storage_mode_P22rocsparse_data_status_.uses_flat_scratch, 0
	.set _ZN9rocsparseL23check_matrix_csr_deviceILj256ELj16E21rocsparse_complex_numIfEiiEEvT3_S3_T2_PKT1_PKS4_PKS3_SB_21rocsparse_index_base_22rocsparse_matrix_type_20rocsparse_fill_mode_23rocsparse_storage_mode_P22rocsparse_data_status_.has_dyn_sized_stack, 0
	.set _ZN9rocsparseL23check_matrix_csr_deviceILj256ELj16E21rocsparse_complex_numIfEiiEEvT3_S3_T2_PKT1_PKS4_PKS3_SB_21rocsparse_index_base_22rocsparse_matrix_type_20rocsparse_fill_mode_23rocsparse_storage_mode_P22rocsparse_data_status_.has_recursion, 0
	.set _ZN9rocsparseL23check_matrix_csr_deviceILj256ELj16E21rocsparse_complex_numIfEiiEEvT3_S3_T2_PKT1_PKS4_PKS3_SB_21rocsparse_index_base_22rocsparse_matrix_type_20rocsparse_fill_mode_23rocsparse_storage_mode_P22rocsparse_data_status_.has_indirect_call, 0
	.section	.AMDGPU.csdata,"",@progbits
; Kernel info:
; codeLenInByte = 1032
; TotalNumSgprs: 31
; NumVgprs: 10
; ScratchSize: 0
; MemoryBound: 0
; FloatMode: 240
; IeeeMode: 1
; LDSByteSize: 0 bytes/workgroup (compile time only)
; SGPRBlocks: 0
; VGPRBlocks: 0
; NumSGPRsForWavesPerEU: 31
; NumVGPRsForWavesPerEU: 10
; NamedBarCnt: 0
; Occupancy: 16
; WaveLimiterHint : 0
; COMPUTE_PGM_RSRC2:SCRATCH_EN: 0
; COMPUTE_PGM_RSRC2:USER_SGPR: 2
; COMPUTE_PGM_RSRC2:TRAP_HANDLER: 0
; COMPUTE_PGM_RSRC2:TGID_X_EN: 1
; COMPUTE_PGM_RSRC2:TGID_Y_EN: 0
; COMPUTE_PGM_RSRC2:TGID_Z_EN: 0
; COMPUTE_PGM_RSRC2:TIDIG_COMP_CNT: 0
	.section	.text._ZN9rocsparseL23check_matrix_csr_deviceILj256ELj32E21rocsparse_complex_numIfEiiEEvT3_S3_T2_PKT1_PKS4_PKS3_SB_21rocsparse_index_base_22rocsparse_matrix_type_20rocsparse_fill_mode_23rocsparse_storage_mode_P22rocsparse_data_status_,"axG",@progbits,_ZN9rocsparseL23check_matrix_csr_deviceILj256ELj32E21rocsparse_complex_numIfEiiEEvT3_S3_T2_PKT1_PKS4_PKS3_SB_21rocsparse_index_base_22rocsparse_matrix_type_20rocsparse_fill_mode_23rocsparse_storage_mode_P22rocsparse_data_status_,comdat
	.globl	_ZN9rocsparseL23check_matrix_csr_deviceILj256ELj32E21rocsparse_complex_numIfEiiEEvT3_S3_T2_PKT1_PKS4_PKS3_SB_21rocsparse_index_base_22rocsparse_matrix_type_20rocsparse_fill_mode_23rocsparse_storage_mode_P22rocsparse_data_status_ ; -- Begin function _ZN9rocsparseL23check_matrix_csr_deviceILj256ELj32E21rocsparse_complex_numIfEiiEEvT3_S3_T2_PKT1_PKS4_PKS3_SB_21rocsparse_index_base_22rocsparse_matrix_type_20rocsparse_fill_mode_23rocsparse_storage_mode_P22rocsparse_data_status_
	.p2align	8
	.type	_ZN9rocsparseL23check_matrix_csr_deviceILj256ELj32E21rocsparse_complex_numIfEiiEEvT3_S3_T2_PKT1_PKS4_PKS3_SB_21rocsparse_index_base_22rocsparse_matrix_type_20rocsparse_fill_mode_23rocsparse_storage_mode_P22rocsparse_data_status_,@function
_ZN9rocsparseL23check_matrix_csr_deviceILj256ELj32E21rocsparse_complex_numIfEiiEEvT3_S3_T2_PKT1_PKS4_PKS3_SB_21rocsparse_index_base_22rocsparse_matrix_type_20rocsparse_fill_mode_23rocsparse_storage_mode_P22rocsparse_data_status_: ; @_ZN9rocsparseL23check_matrix_csr_deviceILj256ELj32E21rocsparse_complex_numIfEiiEEvT3_S3_T2_PKT1_PKS4_PKS3_SB_21rocsparse_index_base_22rocsparse_matrix_type_20rocsparse_fill_mode_23rocsparse_storage_mode_P22rocsparse_data_status_
; %bb.0:
	s_bfe_u32 s2, ttmp6, 0x4000c
	s_load_b64 s[12:13], s[0:1], 0x0
	s_add_co_i32 s2, s2, 1
	s_and_b32 s3, ttmp6, 15
	s_mul_i32 s2, ttmp9, s2
	s_getreg_b32 s4, hwreg(HW_REG_IB_STS2, 6, 4)
	s_add_co_i32 s3, s3, s2
	s_cmp_eq_u32 s4, 0
	s_cselect_b32 s2, ttmp9, s3
	s_delay_alu instid0(SALU_CYCLE_1) | instskip(SKIP_1) | instid1(VALU_DEP_1)
	v_lshl_or_b32 v1, s2, 8, v0
	s_mov_b32 s2, exec_lo
	v_lshrrev_b32_e32 v4, 5, v1
	s_wait_kmcnt 0x0
	s_delay_alu instid0(VALU_DEP_1)
	v_cmpx_gt_i32_e64 s12, v4
	s_cbranch_execz .LBB19_31
; %bb.1:
	s_load_b64 s[2:3], s[0:1], 0x18
	v_dual_lshlrev_b32 v1, 2, v4 :: v_dual_mov_b32 v7, 3
	s_wait_kmcnt 0x0
	global_load_b64 v[2:3], v1, s[2:3]
	s_wait_xcnt 0x0
	s_load_b32 s2, s[2:3], 0x0
	s_wait_loadcnt 0x0
	s_wait_kmcnt 0x0
	v_subrev_nc_u32_e32 v5, s2, v3
	v_subrev_nc_u32_e32 v6, s2, v2
	v_cmp_lt_i32_e64 s2, v3, v2
	s_delay_alu instid0(VALU_DEP_3) | instskip(NEXT) | instid1(VALU_DEP_3)
	v_cmp_gt_i32_e32 vcc_lo, 0, v5
	v_cmp_lt_i32_e64 s3, -1, v6
	s_or_b32 s2, vcc_lo, s2
	s_delay_alu instid0(SALU_CYCLE_1) | instskip(SKIP_2) | instid1(SALU_CYCLE_1)
	s_xor_b32 s4, s2, -1
	s_mov_b32 s2, -1
	s_and_b32 s3, s3, s4
	s_and_saveexec_b32 s12, s3
	s_cbranch_execz .LBB19_29
; %bb.2:
	v_dual_mov_b32 v7, 3 :: v_dual_bitop2_b32 v0, 31, v0 bitop3:0x40
	s_mov_b32 s2, 0
	s_mov_b32 s16, exec_lo
	s_delay_alu instid0(VALU_DEP_1) | instskip(NEXT) | instid1(VALU_DEP_1)
	v_add_nc_u32_e32 v0, v6, v0
	v_cmpx_lt_u32_e64 v0, v5
	s_cbranch_execz .LBB19_28
; %bb.3:
	s_clause 0x1
	s_load_b256 s[4:11], s[0:1], 0x20
	s_load_b64 s[14:15], s[0:1], 0x10
                                        ; implicit-def: $sgpr18
                                        ; implicit-def: $sgpr19
                                        ; implicit-def: $sgpr20
	s_wait_kmcnt 0x0
	s_cmp_lg_u32 s9, 0
	s_cselect_b32 s9, -1, 0
	s_cmp_lg_u32 s10, 0
	s_cselect_b32 s10, -1, 0
	s_cmp_lg_u32 s11, 0
	s_mov_b32 s11, 0
	s_cselect_b32 s17, -1, 0
	s_branch .LBB19_10
.LBB19_4:                               ;   in Loop: Header=BB19_10 Depth=1
	s_or_b32 exec_lo, exec_lo, s27
	s_delay_alu instid0(SALU_CYCLE_1)
	s_or_not1_b32 s28, s3, exec_lo
	s_or_not1_b32 s2, s25, exec_lo
.LBB19_5:                               ;   in Loop: Header=BB19_10 Depth=1
	s_or_b32 exec_lo, exec_lo, s26
	s_delay_alu instid0(SALU_CYCLE_1)
	s_or_not1_b32 s3, s28, exec_lo
	s_or_not1_b32 s2, s2, exec_lo
.LBB19_6:                               ;   in Loop: Header=BB19_10 Depth=1
	s_or_b32 exec_lo, exec_lo, s24
	s_delay_alu instid0(SALU_CYCLE_1)
	s_or_not1_b32 s24, s3, exec_lo
	s_or_not1_b32 s3, s2, exec_lo
.LBB19_7:                               ;   in Loop: Header=BB19_10 Depth=1
	s_or_b32 exec_lo, exec_lo, s23
	s_delay_alu instid0(SALU_CYCLE_1)
	s_or_not1_b32 s23, s24, exec_lo
	s_or_not1_b32 s2, s3, exec_lo
.LBB19_8:                               ;   in Loop: Header=BB19_10 Depth=1
	s_or_b32 exec_lo, exec_lo, s22
	s_delay_alu instid0(SALU_CYCLE_1)
	s_and_not1_b32 s3, s20, exec_lo
	s_and_b32 s20, s23, exec_lo
	s_and_not1_b32 s19, s19, exec_lo
	s_and_b32 s2, s2, exec_lo
	s_or_b32 s20, s3, s20
	s_or_b32 s19, s19, s2
.LBB19_9:                               ;   in Loop: Header=BB19_10 Depth=1
	s_or_b32 exec_lo, exec_lo, s21
	s_delay_alu instid0(SALU_CYCLE_1) | instskip(NEXT) | instid1(SALU_CYCLE_1)
	s_and_b32 s2, exec_lo, s19
	s_or_b32 s11, s2, s11
	s_and_not1_b32 s2, s18, exec_lo
	s_and_b32 s3, s20, exec_lo
	s_delay_alu instid0(SALU_CYCLE_1)
	s_or_b32 s18, s2, s3
	s_and_not1_b32 exec_lo, exec_lo, s11
	s_cbranch_execz .LBB19_27
.LBB19_10:                              ; =>This Inner Loop Header: Depth=1
	global_load_b32 v8, v0, s[4:5] scale_offset
	v_mov_b32_e32 v7, 4
	s_or_b32 s20, s20, exec_lo
	s_or_b32 s19, s19, exec_lo
	s_wait_loadcnt 0x0
	v_subrev_nc_u32_e32 v9, s8, v8
	s_delay_alu instid0(VALU_DEP_1) | instskip(SKIP_2) | instid1(SALU_CYCLE_1)
	v_cmp_lt_i32_e32 vcc_lo, -1, v9
	v_cmp_gt_i32_e64 s2, s13, v9
	s_and_b32 s2, vcc_lo, s2
	s_and_saveexec_b32 s21, s2
	s_cbranch_execz .LBB19_9
; %bb.11:                               ;   in Loop: Header=BB19_10 Depth=1
	v_cmp_le_i32_e64 s25, v0, v6
	v_dual_ashrrev_i32 v1, 31, v0 :: v_dual_mov_b32 v7, 4
	s_mov_b32 s22, exec_lo
	s_mov_b32 s3, s25
	v_cmpx_gt_i32_e64 v0, v6
	s_cbranch_execz .LBB19_13
; %bb.12:                               ;   in Loop: Header=BB19_10 Depth=1
	v_lshl_add_u64 v[2:3], v[0:1], 2, s[6:7]
	global_load_b64 v[2:3], v[2:3], off offset:-4
	s_wait_loadcnt 0x0
	v_subrev_nc_u32_e32 v7, s8, v2
	v_cmp_ne_u32_e64 s3, v3, v2
	s_delay_alu instid0(VALU_DEP_2) | instskip(SKIP_3) | instid1(SALU_CYCLE_1)
	v_cmp_lt_i32_e32 vcc_lo, -1, v7
	v_cmp_gt_i32_e64 s2, s13, v7
	v_mov_b32_e32 v7, 5
	s_and_b32 s2, vcc_lo, s2
	s_xor_b32 s2, s2, -1
	s_delay_alu instid0(SALU_CYCLE_1) | instskip(SKIP_2) | instid1(SALU_CYCLE_1)
	s_or_b32 s2, s3, s2
	s_and_not1_b32 s3, s25, exec_lo
	s_and_b32 s2, s2, exec_lo
	s_or_b32 s3, s3, s2
.LBB19_13:                              ;   in Loop: Header=BB19_10 Depth=1
	s_or_b32 exec_lo, exec_lo, s22
	s_mov_b32 s2, -1
	s_mov_b32 s23, -1
	s_and_saveexec_b32 s22, s3
	s_cbranch_execz .LBB19_8
; %bb.14:                               ;   in Loop: Header=BB19_10 Depth=1
	v_lshl_add_u64 v[2:3], v[0:1], 3, s[14:15]
	v_mov_b32_e32 v7, 1
	s_mov_b32 s3, -1
	s_mov_b32 s24, -1
	global_load_b64 v[2:3], v[2:3], off
	s_wait_loadcnt 0x0
	v_cmp_neq_f32_e32 vcc_lo, 0x7f800000, v2
	v_cmp_neq_f32_e64 s2, 0x7f800000, v3
	s_and_b32 s2, vcc_lo, s2
	s_delay_alu instid0(SALU_CYCLE_1)
	s_and_saveexec_b32 s23, s2
	s_cbranch_execz .LBB19_7
; %bb.15:                               ;   in Loop: Header=BB19_10 Depth=1
	v_mov_b32_e32 v7, 2
	s_mov_b32 s2, -1
	s_mov_b32 s24, exec_lo
	v_cmpx_o_f32_e32 v2, v3
	s_cbranch_execz .LBB19_6
; %bb.16:                               ;   in Loop: Header=BB19_10 Depth=1
	s_and_b32 vcc_lo, exec_lo, s9
	s_cbranch_vccz .LBB19_19
; %bb.17:                               ;   in Loop: Header=BB19_10 Depth=1
	s_and_b32 vcc_lo, exec_lo, s10
	s_cbranch_vccz .LBB19_20
; %bb.18:                               ;   in Loop: Header=BB19_10 Depth=1
	v_cmp_le_i32_e32 vcc_lo, v4, v9
	s_mov_b32 s3, 7
	s_and_b32 s27, vcc_lo, exec_lo
	s_cbranch_execz .LBB19_21
	s_branch .LBB19_22
.LBB19_19:                              ;   in Loop: Header=BB19_10 Depth=1
	s_mov_b32 s3, 2
	s_mov_b32 s27, -1
	s_branch .LBB19_22
.LBB19_20:                              ;   in Loop: Header=BB19_10 Depth=1
	s_mov_b32 s27, 0
	s_mov_b32 s3, 2
.LBB19_21:                              ;   in Loop: Header=BB19_10 Depth=1
	v_cmp_ge_i32_e32 vcc_lo, v4, v9
	s_and_not1_b32 s26, s27, exec_lo
	s_mov_b32 s3, 7
	s_and_b32 s27, vcc_lo, exec_lo
	s_delay_alu instid0(SALU_CYCLE_1)
	s_or_b32 s27, s26, s27
.LBB19_22:                              ;   in Loop: Header=BB19_10 Depth=1
	v_mov_b32_e32 v7, s3
	s_mov_b32 s28, -1
	s_and_saveexec_b32 s26, s27
	s_cbranch_execz .LBB19_5
; %bb.23:                               ;   in Loop: Header=BB19_10 Depth=1
	v_mov_b32_e32 v7, s3
	s_nor_b32 s3, s17, s25
	s_mov_b32 s25, -1
	s_and_saveexec_b32 s27, s3
	s_cbranch_execz .LBB19_25
; %bb.24:                               ;   in Loop: Header=BB19_10 Depth=1
	v_lshl_add_u64 v[2:3], v[0:1], 2, s[4:5]
	v_mov_b32_e32 v7, 6
	global_load_b32 v1, v[2:3], off offset:-4
	s_wait_loadcnt 0x0
	v_subrev_nc_u32_e32 v2, s8, v1
	v_cmp_gt_i32_e64 s3, v8, v1
	s_delay_alu instid0(VALU_DEP_2) | instskip(SKIP_2) | instid1(SALU_CYCLE_1)
	v_cmp_lt_i32_e32 vcc_lo, -1, v2
	v_cmp_gt_i32_e64 s2, s13, v2
	s_and_b32 s2, vcc_lo, s2
	s_xor_b32 s2, s2, -1
	s_delay_alu instid0(SALU_CYCLE_1) | instskip(NEXT) | instid1(SALU_CYCLE_1)
	s_or_b32 s2, s3, s2
	s_or_not1_b32 s2, s2, exec_lo
.LBB19_25:                              ;   in Loop: Header=BB19_10 Depth=1
	s_or_b32 exec_lo, exec_lo, s27
	s_mov_b32 s3, -1
	s_and_saveexec_b32 s27, s2
	s_cbranch_execz .LBB19_4
; %bb.26:                               ;   in Loop: Header=BB19_10 Depth=1
	v_add_nc_u32_e32 v0, 32, v0
	s_xor_b32 s3, exec_lo, -1
	s_delay_alu instid0(VALU_DEP_1)
	v_cmp_ge_i32_e32 vcc_lo, v0, v5
	s_or_not1_b32 s25, vcc_lo, exec_lo
	s_branch .LBB19_4
.LBB19_27:
	s_or_b32 exec_lo, exec_lo, s11
	s_delay_alu instid0(SALU_CYCLE_1)
	s_and_b32 s2, s18, exec_lo
.LBB19_28:
	s_or_b32 exec_lo, exec_lo, s16
	s_delay_alu instid0(SALU_CYCLE_1)
	s_or_not1_b32 s2, s2, exec_lo
.LBB19_29:
	s_or_b32 exec_lo, exec_lo, s12
	s_delay_alu instid0(SALU_CYCLE_1)
	s_and_b32 exec_lo, exec_lo, s2
	s_cbranch_execz .LBB19_31
; %bb.30:
	s_load_b64 s[0:1], s[0:1], 0x40
	v_mov_b32_e32 v0, 0
	s_wait_kmcnt 0x0
	global_store_b32 v0, v7, s[0:1]
.LBB19_31:
	s_endpgm
	.section	.rodata,"a",@progbits
	.p2align	6, 0x0
	.amdhsa_kernel _ZN9rocsparseL23check_matrix_csr_deviceILj256ELj32E21rocsparse_complex_numIfEiiEEvT3_S3_T2_PKT1_PKS4_PKS3_SB_21rocsparse_index_base_22rocsparse_matrix_type_20rocsparse_fill_mode_23rocsparse_storage_mode_P22rocsparse_data_status_
		.amdhsa_group_segment_fixed_size 0
		.amdhsa_private_segment_fixed_size 0
		.amdhsa_kernarg_size 72
		.amdhsa_user_sgpr_count 2
		.amdhsa_user_sgpr_dispatch_ptr 0
		.amdhsa_user_sgpr_queue_ptr 0
		.amdhsa_user_sgpr_kernarg_segment_ptr 1
		.amdhsa_user_sgpr_dispatch_id 0
		.amdhsa_user_sgpr_kernarg_preload_length 0
		.amdhsa_user_sgpr_kernarg_preload_offset 0
		.amdhsa_user_sgpr_private_segment_size 0
		.amdhsa_wavefront_size32 1
		.amdhsa_uses_dynamic_stack 0
		.amdhsa_enable_private_segment 0
		.amdhsa_system_sgpr_workgroup_id_x 1
		.amdhsa_system_sgpr_workgroup_id_y 0
		.amdhsa_system_sgpr_workgroup_id_z 0
		.amdhsa_system_sgpr_workgroup_info 0
		.amdhsa_system_vgpr_workitem_id 0
		.amdhsa_next_free_vgpr 10
		.amdhsa_next_free_sgpr 29
		.amdhsa_named_barrier_count 0
		.amdhsa_reserve_vcc 1
		.amdhsa_float_round_mode_32 0
		.amdhsa_float_round_mode_16_64 0
		.amdhsa_float_denorm_mode_32 3
		.amdhsa_float_denorm_mode_16_64 3
		.amdhsa_fp16_overflow 0
		.amdhsa_memory_ordered 1
		.amdhsa_forward_progress 1
		.amdhsa_inst_pref_size 9
		.amdhsa_round_robin_scheduling 0
		.amdhsa_exception_fp_ieee_invalid_op 0
		.amdhsa_exception_fp_denorm_src 0
		.amdhsa_exception_fp_ieee_div_zero 0
		.amdhsa_exception_fp_ieee_overflow 0
		.amdhsa_exception_fp_ieee_underflow 0
		.amdhsa_exception_fp_ieee_inexact 0
		.amdhsa_exception_int_div_zero 0
	.end_amdhsa_kernel
	.section	.text._ZN9rocsparseL23check_matrix_csr_deviceILj256ELj32E21rocsparse_complex_numIfEiiEEvT3_S3_T2_PKT1_PKS4_PKS3_SB_21rocsparse_index_base_22rocsparse_matrix_type_20rocsparse_fill_mode_23rocsparse_storage_mode_P22rocsparse_data_status_,"axG",@progbits,_ZN9rocsparseL23check_matrix_csr_deviceILj256ELj32E21rocsparse_complex_numIfEiiEEvT3_S3_T2_PKT1_PKS4_PKS3_SB_21rocsparse_index_base_22rocsparse_matrix_type_20rocsparse_fill_mode_23rocsparse_storage_mode_P22rocsparse_data_status_,comdat
.Lfunc_end19:
	.size	_ZN9rocsparseL23check_matrix_csr_deviceILj256ELj32E21rocsparse_complex_numIfEiiEEvT3_S3_T2_PKT1_PKS4_PKS3_SB_21rocsparse_index_base_22rocsparse_matrix_type_20rocsparse_fill_mode_23rocsparse_storage_mode_P22rocsparse_data_status_, .Lfunc_end19-_ZN9rocsparseL23check_matrix_csr_deviceILj256ELj32E21rocsparse_complex_numIfEiiEEvT3_S3_T2_PKT1_PKS4_PKS3_SB_21rocsparse_index_base_22rocsparse_matrix_type_20rocsparse_fill_mode_23rocsparse_storage_mode_P22rocsparse_data_status_
                                        ; -- End function
	.set _ZN9rocsparseL23check_matrix_csr_deviceILj256ELj32E21rocsparse_complex_numIfEiiEEvT3_S3_T2_PKT1_PKS4_PKS3_SB_21rocsparse_index_base_22rocsparse_matrix_type_20rocsparse_fill_mode_23rocsparse_storage_mode_P22rocsparse_data_status_.num_vgpr, 10
	.set _ZN9rocsparseL23check_matrix_csr_deviceILj256ELj32E21rocsparse_complex_numIfEiiEEvT3_S3_T2_PKT1_PKS4_PKS3_SB_21rocsparse_index_base_22rocsparse_matrix_type_20rocsparse_fill_mode_23rocsparse_storage_mode_P22rocsparse_data_status_.num_agpr, 0
	.set _ZN9rocsparseL23check_matrix_csr_deviceILj256ELj32E21rocsparse_complex_numIfEiiEEvT3_S3_T2_PKT1_PKS4_PKS3_SB_21rocsparse_index_base_22rocsparse_matrix_type_20rocsparse_fill_mode_23rocsparse_storage_mode_P22rocsparse_data_status_.numbered_sgpr, 29
	.set _ZN9rocsparseL23check_matrix_csr_deviceILj256ELj32E21rocsparse_complex_numIfEiiEEvT3_S3_T2_PKT1_PKS4_PKS3_SB_21rocsparse_index_base_22rocsparse_matrix_type_20rocsparse_fill_mode_23rocsparse_storage_mode_P22rocsparse_data_status_.num_named_barrier, 0
	.set _ZN9rocsparseL23check_matrix_csr_deviceILj256ELj32E21rocsparse_complex_numIfEiiEEvT3_S3_T2_PKT1_PKS4_PKS3_SB_21rocsparse_index_base_22rocsparse_matrix_type_20rocsparse_fill_mode_23rocsparse_storage_mode_P22rocsparse_data_status_.private_seg_size, 0
	.set _ZN9rocsparseL23check_matrix_csr_deviceILj256ELj32E21rocsparse_complex_numIfEiiEEvT3_S3_T2_PKT1_PKS4_PKS3_SB_21rocsparse_index_base_22rocsparse_matrix_type_20rocsparse_fill_mode_23rocsparse_storage_mode_P22rocsparse_data_status_.uses_vcc, 1
	.set _ZN9rocsparseL23check_matrix_csr_deviceILj256ELj32E21rocsparse_complex_numIfEiiEEvT3_S3_T2_PKT1_PKS4_PKS3_SB_21rocsparse_index_base_22rocsparse_matrix_type_20rocsparse_fill_mode_23rocsparse_storage_mode_P22rocsparse_data_status_.uses_flat_scratch, 0
	.set _ZN9rocsparseL23check_matrix_csr_deviceILj256ELj32E21rocsparse_complex_numIfEiiEEvT3_S3_T2_PKT1_PKS4_PKS3_SB_21rocsparse_index_base_22rocsparse_matrix_type_20rocsparse_fill_mode_23rocsparse_storage_mode_P22rocsparse_data_status_.has_dyn_sized_stack, 0
	.set _ZN9rocsparseL23check_matrix_csr_deviceILj256ELj32E21rocsparse_complex_numIfEiiEEvT3_S3_T2_PKT1_PKS4_PKS3_SB_21rocsparse_index_base_22rocsparse_matrix_type_20rocsparse_fill_mode_23rocsparse_storage_mode_P22rocsparse_data_status_.has_recursion, 0
	.set _ZN9rocsparseL23check_matrix_csr_deviceILj256ELj32E21rocsparse_complex_numIfEiiEEvT3_S3_T2_PKT1_PKS4_PKS3_SB_21rocsparse_index_base_22rocsparse_matrix_type_20rocsparse_fill_mode_23rocsparse_storage_mode_P22rocsparse_data_status_.has_indirect_call, 0
	.section	.AMDGPU.csdata,"",@progbits
; Kernel info:
; codeLenInByte = 1032
; TotalNumSgprs: 31
; NumVgprs: 10
; ScratchSize: 0
; MemoryBound: 0
; FloatMode: 240
; IeeeMode: 1
; LDSByteSize: 0 bytes/workgroup (compile time only)
; SGPRBlocks: 0
; VGPRBlocks: 0
; NumSGPRsForWavesPerEU: 31
; NumVGPRsForWavesPerEU: 10
; NamedBarCnt: 0
; Occupancy: 16
; WaveLimiterHint : 0
; COMPUTE_PGM_RSRC2:SCRATCH_EN: 0
; COMPUTE_PGM_RSRC2:USER_SGPR: 2
; COMPUTE_PGM_RSRC2:TRAP_HANDLER: 0
; COMPUTE_PGM_RSRC2:TGID_X_EN: 1
; COMPUTE_PGM_RSRC2:TGID_Y_EN: 0
; COMPUTE_PGM_RSRC2:TGID_Z_EN: 0
; COMPUTE_PGM_RSRC2:TIDIG_COMP_CNT: 0
	.section	.text._ZN9rocsparseL23check_matrix_csr_deviceILj256ELj64E21rocsparse_complex_numIfEiiEEvT3_S3_T2_PKT1_PKS4_PKS3_SB_21rocsparse_index_base_22rocsparse_matrix_type_20rocsparse_fill_mode_23rocsparse_storage_mode_P22rocsparse_data_status_,"axG",@progbits,_ZN9rocsparseL23check_matrix_csr_deviceILj256ELj64E21rocsparse_complex_numIfEiiEEvT3_S3_T2_PKT1_PKS4_PKS3_SB_21rocsparse_index_base_22rocsparse_matrix_type_20rocsparse_fill_mode_23rocsparse_storage_mode_P22rocsparse_data_status_,comdat
	.globl	_ZN9rocsparseL23check_matrix_csr_deviceILj256ELj64E21rocsparse_complex_numIfEiiEEvT3_S3_T2_PKT1_PKS4_PKS3_SB_21rocsparse_index_base_22rocsparse_matrix_type_20rocsparse_fill_mode_23rocsparse_storage_mode_P22rocsparse_data_status_ ; -- Begin function _ZN9rocsparseL23check_matrix_csr_deviceILj256ELj64E21rocsparse_complex_numIfEiiEEvT3_S3_T2_PKT1_PKS4_PKS3_SB_21rocsparse_index_base_22rocsparse_matrix_type_20rocsparse_fill_mode_23rocsparse_storage_mode_P22rocsparse_data_status_
	.p2align	8
	.type	_ZN9rocsparseL23check_matrix_csr_deviceILj256ELj64E21rocsparse_complex_numIfEiiEEvT3_S3_T2_PKT1_PKS4_PKS3_SB_21rocsparse_index_base_22rocsparse_matrix_type_20rocsparse_fill_mode_23rocsparse_storage_mode_P22rocsparse_data_status_,@function
_ZN9rocsparseL23check_matrix_csr_deviceILj256ELj64E21rocsparse_complex_numIfEiiEEvT3_S3_T2_PKT1_PKS4_PKS3_SB_21rocsparse_index_base_22rocsparse_matrix_type_20rocsparse_fill_mode_23rocsparse_storage_mode_P22rocsparse_data_status_: ; @_ZN9rocsparseL23check_matrix_csr_deviceILj256ELj64E21rocsparse_complex_numIfEiiEEvT3_S3_T2_PKT1_PKS4_PKS3_SB_21rocsparse_index_base_22rocsparse_matrix_type_20rocsparse_fill_mode_23rocsparse_storage_mode_P22rocsparse_data_status_
; %bb.0:
	s_bfe_u32 s2, ttmp6, 0x4000c
	s_load_b64 s[12:13], s[0:1], 0x0
	s_add_co_i32 s2, s2, 1
	s_and_b32 s3, ttmp6, 15
	s_mul_i32 s2, ttmp9, s2
	s_getreg_b32 s4, hwreg(HW_REG_IB_STS2, 6, 4)
	s_add_co_i32 s3, s3, s2
	s_cmp_eq_u32 s4, 0
	s_cselect_b32 s2, ttmp9, s3
	s_delay_alu instid0(SALU_CYCLE_1) | instskip(SKIP_1) | instid1(VALU_DEP_1)
	v_lshl_or_b32 v1, s2, 8, v0
	s_mov_b32 s2, exec_lo
	v_lshrrev_b32_e32 v4, 6, v1
	s_wait_kmcnt 0x0
	s_delay_alu instid0(VALU_DEP_1)
	v_cmpx_gt_i32_e64 s12, v4
	s_cbranch_execz .LBB20_31
; %bb.1:
	s_load_b64 s[2:3], s[0:1], 0x18
	v_dual_lshlrev_b32 v1, 2, v4 :: v_dual_mov_b32 v7, 3
	s_wait_kmcnt 0x0
	global_load_b64 v[2:3], v1, s[2:3]
	s_wait_xcnt 0x0
	s_load_b32 s2, s[2:3], 0x0
	s_wait_loadcnt 0x0
	s_wait_kmcnt 0x0
	v_subrev_nc_u32_e32 v5, s2, v3
	v_subrev_nc_u32_e32 v6, s2, v2
	v_cmp_lt_i32_e64 s2, v3, v2
	s_delay_alu instid0(VALU_DEP_3) | instskip(NEXT) | instid1(VALU_DEP_3)
	v_cmp_gt_i32_e32 vcc_lo, 0, v5
	v_cmp_lt_i32_e64 s3, -1, v6
	s_or_b32 s2, vcc_lo, s2
	s_delay_alu instid0(SALU_CYCLE_1) | instskip(SKIP_2) | instid1(SALU_CYCLE_1)
	s_xor_b32 s4, s2, -1
	s_mov_b32 s2, -1
	s_and_b32 s3, s3, s4
	s_and_saveexec_b32 s12, s3
	s_cbranch_execz .LBB20_29
; %bb.2:
	v_dual_mov_b32 v7, 3 :: v_dual_bitop2_b32 v0, 63, v0 bitop3:0x40
	s_mov_b32 s2, 0
	s_mov_b32 s16, exec_lo
	s_delay_alu instid0(VALU_DEP_1) | instskip(NEXT) | instid1(VALU_DEP_1)
	v_add_nc_u32_e32 v0, v6, v0
	v_cmpx_lt_u32_e64 v0, v5
	s_cbranch_execz .LBB20_28
; %bb.3:
	s_clause 0x1
	s_load_b256 s[4:11], s[0:1], 0x20
	s_load_b64 s[14:15], s[0:1], 0x10
                                        ; implicit-def: $sgpr18
                                        ; implicit-def: $sgpr19
                                        ; implicit-def: $sgpr20
	s_wait_kmcnt 0x0
	s_cmp_lg_u32 s9, 0
	s_cselect_b32 s9, -1, 0
	s_cmp_lg_u32 s10, 0
	s_cselect_b32 s10, -1, 0
	s_cmp_lg_u32 s11, 0
	s_mov_b32 s11, 0
	s_cselect_b32 s17, -1, 0
	s_branch .LBB20_10
.LBB20_4:                               ;   in Loop: Header=BB20_10 Depth=1
	s_or_b32 exec_lo, exec_lo, s27
	s_delay_alu instid0(SALU_CYCLE_1)
	s_or_not1_b32 s28, s3, exec_lo
	s_or_not1_b32 s2, s25, exec_lo
.LBB20_5:                               ;   in Loop: Header=BB20_10 Depth=1
	s_or_b32 exec_lo, exec_lo, s26
	s_delay_alu instid0(SALU_CYCLE_1)
	s_or_not1_b32 s3, s28, exec_lo
	s_or_not1_b32 s2, s2, exec_lo
.LBB20_6:                               ;   in Loop: Header=BB20_10 Depth=1
	s_or_b32 exec_lo, exec_lo, s24
	s_delay_alu instid0(SALU_CYCLE_1)
	s_or_not1_b32 s24, s3, exec_lo
	s_or_not1_b32 s3, s2, exec_lo
.LBB20_7:                               ;   in Loop: Header=BB20_10 Depth=1
	s_or_b32 exec_lo, exec_lo, s23
	s_delay_alu instid0(SALU_CYCLE_1)
	s_or_not1_b32 s23, s24, exec_lo
	s_or_not1_b32 s2, s3, exec_lo
.LBB20_8:                               ;   in Loop: Header=BB20_10 Depth=1
	s_or_b32 exec_lo, exec_lo, s22
	s_delay_alu instid0(SALU_CYCLE_1)
	s_and_not1_b32 s3, s20, exec_lo
	s_and_b32 s20, s23, exec_lo
	s_and_not1_b32 s19, s19, exec_lo
	s_and_b32 s2, s2, exec_lo
	s_or_b32 s20, s3, s20
	s_or_b32 s19, s19, s2
.LBB20_9:                               ;   in Loop: Header=BB20_10 Depth=1
	s_or_b32 exec_lo, exec_lo, s21
	s_delay_alu instid0(SALU_CYCLE_1) | instskip(NEXT) | instid1(SALU_CYCLE_1)
	s_and_b32 s2, exec_lo, s19
	s_or_b32 s11, s2, s11
	s_and_not1_b32 s2, s18, exec_lo
	s_and_b32 s3, s20, exec_lo
	s_delay_alu instid0(SALU_CYCLE_1)
	s_or_b32 s18, s2, s3
	s_and_not1_b32 exec_lo, exec_lo, s11
	s_cbranch_execz .LBB20_27
.LBB20_10:                              ; =>This Inner Loop Header: Depth=1
	global_load_b32 v8, v0, s[4:5] scale_offset
	v_mov_b32_e32 v7, 4
	s_or_b32 s20, s20, exec_lo
	s_or_b32 s19, s19, exec_lo
	s_wait_loadcnt 0x0
	v_subrev_nc_u32_e32 v9, s8, v8
	s_delay_alu instid0(VALU_DEP_1) | instskip(SKIP_2) | instid1(SALU_CYCLE_1)
	v_cmp_lt_i32_e32 vcc_lo, -1, v9
	v_cmp_gt_i32_e64 s2, s13, v9
	s_and_b32 s2, vcc_lo, s2
	s_and_saveexec_b32 s21, s2
	s_cbranch_execz .LBB20_9
; %bb.11:                               ;   in Loop: Header=BB20_10 Depth=1
	v_cmp_le_i32_e64 s25, v0, v6
	v_dual_ashrrev_i32 v1, 31, v0 :: v_dual_mov_b32 v7, 4
	s_mov_b32 s22, exec_lo
	s_mov_b32 s3, s25
	v_cmpx_gt_i32_e64 v0, v6
	s_cbranch_execz .LBB20_13
; %bb.12:                               ;   in Loop: Header=BB20_10 Depth=1
	v_lshl_add_u64 v[2:3], v[0:1], 2, s[6:7]
	global_load_b64 v[2:3], v[2:3], off offset:-4
	s_wait_loadcnt 0x0
	v_subrev_nc_u32_e32 v7, s8, v2
	v_cmp_ne_u32_e64 s3, v3, v2
	s_delay_alu instid0(VALU_DEP_2) | instskip(SKIP_3) | instid1(SALU_CYCLE_1)
	v_cmp_lt_i32_e32 vcc_lo, -1, v7
	v_cmp_gt_i32_e64 s2, s13, v7
	v_mov_b32_e32 v7, 5
	s_and_b32 s2, vcc_lo, s2
	s_xor_b32 s2, s2, -1
	s_delay_alu instid0(SALU_CYCLE_1) | instskip(SKIP_2) | instid1(SALU_CYCLE_1)
	s_or_b32 s2, s3, s2
	s_and_not1_b32 s3, s25, exec_lo
	s_and_b32 s2, s2, exec_lo
	s_or_b32 s3, s3, s2
.LBB20_13:                              ;   in Loop: Header=BB20_10 Depth=1
	s_or_b32 exec_lo, exec_lo, s22
	s_mov_b32 s2, -1
	s_mov_b32 s23, -1
	s_and_saveexec_b32 s22, s3
	s_cbranch_execz .LBB20_8
; %bb.14:                               ;   in Loop: Header=BB20_10 Depth=1
	v_lshl_add_u64 v[2:3], v[0:1], 3, s[14:15]
	v_mov_b32_e32 v7, 1
	s_mov_b32 s3, -1
	s_mov_b32 s24, -1
	global_load_b64 v[2:3], v[2:3], off
	s_wait_loadcnt 0x0
	v_cmp_neq_f32_e32 vcc_lo, 0x7f800000, v2
	v_cmp_neq_f32_e64 s2, 0x7f800000, v3
	s_and_b32 s2, vcc_lo, s2
	s_delay_alu instid0(SALU_CYCLE_1)
	s_and_saveexec_b32 s23, s2
	s_cbranch_execz .LBB20_7
; %bb.15:                               ;   in Loop: Header=BB20_10 Depth=1
	v_mov_b32_e32 v7, 2
	s_mov_b32 s2, -1
	s_mov_b32 s24, exec_lo
	v_cmpx_o_f32_e32 v2, v3
	s_cbranch_execz .LBB20_6
; %bb.16:                               ;   in Loop: Header=BB20_10 Depth=1
	s_and_b32 vcc_lo, exec_lo, s9
	s_cbranch_vccz .LBB20_19
; %bb.17:                               ;   in Loop: Header=BB20_10 Depth=1
	s_and_b32 vcc_lo, exec_lo, s10
	s_cbranch_vccz .LBB20_20
; %bb.18:                               ;   in Loop: Header=BB20_10 Depth=1
	v_cmp_le_i32_e32 vcc_lo, v4, v9
	s_mov_b32 s3, 7
	s_and_b32 s27, vcc_lo, exec_lo
	s_cbranch_execz .LBB20_21
	s_branch .LBB20_22
.LBB20_19:                              ;   in Loop: Header=BB20_10 Depth=1
	s_mov_b32 s3, 2
	s_mov_b32 s27, -1
	s_branch .LBB20_22
.LBB20_20:                              ;   in Loop: Header=BB20_10 Depth=1
	s_mov_b32 s27, 0
	s_mov_b32 s3, 2
.LBB20_21:                              ;   in Loop: Header=BB20_10 Depth=1
	v_cmp_ge_i32_e32 vcc_lo, v4, v9
	s_and_not1_b32 s26, s27, exec_lo
	s_mov_b32 s3, 7
	s_and_b32 s27, vcc_lo, exec_lo
	s_delay_alu instid0(SALU_CYCLE_1)
	s_or_b32 s27, s26, s27
.LBB20_22:                              ;   in Loop: Header=BB20_10 Depth=1
	v_mov_b32_e32 v7, s3
	s_mov_b32 s28, -1
	s_and_saveexec_b32 s26, s27
	s_cbranch_execz .LBB20_5
; %bb.23:                               ;   in Loop: Header=BB20_10 Depth=1
	v_mov_b32_e32 v7, s3
	s_nor_b32 s3, s17, s25
	s_mov_b32 s25, -1
	s_and_saveexec_b32 s27, s3
	s_cbranch_execz .LBB20_25
; %bb.24:                               ;   in Loop: Header=BB20_10 Depth=1
	v_lshl_add_u64 v[2:3], v[0:1], 2, s[4:5]
	v_mov_b32_e32 v7, 6
	global_load_b32 v1, v[2:3], off offset:-4
	s_wait_loadcnt 0x0
	v_subrev_nc_u32_e32 v2, s8, v1
	v_cmp_gt_i32_e64 s3, v8, v1
	s_delay_alu instid0(VALU_DEP_2) | instskip(SKIP_2) | instid1(SALU_CYCLE_1)
	v_cmp_lt_i32_e32 vcc_lo, -1, v2
	v_cmp_gt_i32_e64 s2, s13, v2
	s_and_b32 s2, vcc_lo, s2
	s_xor_b32 s2, s2, -1
	s_delay_alu instid0(SALU_CYCLE_1) | instskip(NEXT) | instid1(SALU_CYCLE_1)
	s_or_b32 s2, s3, s2
	s_or_not1_b32 s2, s2, exec_lo
.LBB20_25:                              ;   in Loop: Header=BB20_10 Depth=1
	s_or_b32 exec_lo, exec_lo, s27
	s_mov_b32 s3, -1
	s_and_saveexec_b32 s27, s2
	s_cbranch_execz .LBB20_4
; %bb.26:                               ;   in Loop: Header=BB20_10 Depth=1
	v_add_nc_u32_e32 v0, 64, v0
	s_xor_b32 s3, exec_lo, -1
	s_delay_alu instid0(VALU_DEP_1)
	v_cmp_ge_i32_e32 vcc_lo, v0, v5
	s_or_not1_b32 s25, vcc_lo, exec_lo
	s_branch .LBB20_4
.LBB20_27:
	s_or_b32 exec_lo, exec_lo, s11
	s_delay_alu instid0(SALU_CYCLE_1)
	s_and_b32 s2, s18, exec_lo
.LBB20_28:
	s_or_b32 exec_lo, exec_lo, s16
	s_delay_alu instid0(SALU_CYCLE_1)
	s_or_not1_b32 s2, s2, exec_lo
.LBB20_29:
	s_or_b32 exec_lo, exec_lo, s12
	s_delay_alu instid0(SALU_CYCLE_1)
	s_and_b32 exec_lo, exec_lo, s2
	s_cbranch_execz .LBB20_31
; %bb.30:
	s_load_b64 s[0:1], s[0:1], 0x40
	v_mov_b32_e32 v0, 0
	s_wait_kmcnt 0x0
	global_store_b32 v0, v7, s[0:1]
.LBB20_31:
	s_endpgm
	.section	.rodata,"a",@progbits
	.p2align	6, 0x0
	.amdhsa_kernel _ZN9rocsparseL23check_matrix_csr_deviceILj256ELj64E21rocsparse_complex_numIfEiiEEvT3_S3_T2_PKT1_PKS4_PKS3_SB_21rocsparse_index_base_22rocsparse_matrix_type_20rocsparse_fill_mode_23rocsparse_storage_mode_P22rocsparse_data_status_
		.amdhsa_group_segment_fixed_size 0
		.amdhsa_private_segment_fixed_size 0
		.amdhsa_kernarg_size 72
		.amdhsa_user_sgpr_count 2
		.amdhsa_user_sgpr_dispatch_ptr 0
		.amdhsa_user_sgpr_queue_ptr 0
		.amdhsa_user_sgpr_kernarg_segment_ptr 1
		.amdhsa_user_sgpr_dispatch_id 0
		.amdhsa_user_sgpr_kernarg_preload_length 0
		.amdhsa_user_sgpr_kernarg_preload_offset 0
		.amdhsa_user_sgpr_private_segment_size 0
		.amdhsa_wavefront_size32 1
		.amdhsa_uses_dynamic_stack 0
		.amdhsa_enable_private_segment 0
		.amdhsa_system_sgpr_workgroup_id_x 1
		.amdhsa_system_sgpr_workgroup_id_y 0
		.amdhsa_system_sgpr_workgroup_id_z 0
		.amdhsa_system_sgpr_workgroup_info 0
		.amdhsa_system_vgpr_workitem_id 0
		.amdhsa_next_free_vgpr 10
		.amdhsa_next_free_sgpr 29
		.amdhsa_named_barrier_count 0
		.amdhsa_reserve_vcc 1
		.amdhsa_float_round_mode_32 0
		.amdhsa_float_round_mode_16_64 0
		.amdhsa_float_denorm_mode_32 3
		.amdhsa_float_denorm_mode_16_64 3
		.amdhsa_fp16_overflow 0
		.amdhsa_memory_ordered 1
		.amdhsa_forward_progress 1
		.amdhsa_inst_pref_size 9
		.amdhsa_round_robin_scheduling 0
		.amdhsa_exception_fp_ieee_invalid_op 0
		.amdhsa_exception_fp_denorm_src 0
		.amdhsa_exception_fp_ieee_div_zero 0
		.amdhsa_exception_fp_ieee_overflow 0
		.amdhsa_exception_fp_ieee_underflow 0
		.amdhsa_exception_fp_ieee_inexact 0
		.amdhsa_exception_int_div_zero 0
	.end_amdhsa_kernel
	.section	.text._ZN9rocsparseL23check_matrix_csr_deviceILj256ELj64E21rocsparse_complex_numIfEiiEEvT3_S3_T2_PKT1_PKS4_PKS3_SB_21rocsparse_index_base_22rocsparse_matrix_type_20rocsparse_fill_mode_23rocsparse_storage_mode_P22rocsparse_data_status_,"axG",@progbits,_ZN9rocsparseL23check_matrix_csr_deviceILj256ELj64E21rocsparse_complex_numIfEiiEEvT3_S3_T2_PKT1_PKS4_PKS3_SB_21rocsparse_index_base_22rocsparse_matrix_type_20rocsparse_fill_mode_23rocsparse_storage_mode_P22rocsparse_data_status_,comdat
.Lfunc_end20:
	.size	_ZN9rocsparseL23check_matrix_csr_deviceILj256ELj64E21rocsparse_complex_numIfEiiEEvT3_S3_T2_PKT1_PKS4_PKS3_SB_21rocsparse_index_base_22rocsparse_matrix_type_20rocsparse_fill_mode_23rocsparse_storage_mode_P22rocsparse_data_status_, .Lfunc_end20-_ZN9rocsparseL23check_matrix_csr_deviceILj256ELj64E21rocsparse_complex_numIfEiiEEvT3_S3_T2_PKT1_PKS4_PKS3_SB_21rocsparse_index_base_22rocsparse_matrix_type_20rocsparse_fill_mode_23rocsparse_storage_mode_P22rocsparse_data_status_
                                        ; -- End function
	.set _ZN9rocsparseL23check_matrix_csr_deviceILj256ELj64E21rocsparse_complex_numIfEiiEEvT3_S3_T2_PKT1_PKS4_PKS3_SB_21rocsparse_index_base_22rocsparse_matrix_type_20rocsparse_fill_mode_23rocsparse_storage_mode_P22rocsparse_data_status_.num_vgpr, 10
	.set _ZN9rocsparseL23check_matrix_csr_deviceILj256ELj64E21rocsparse_complex_numIfEiiEEvT3_S3_T2_PKT1_PKS4_PKS3_SB_21rocsparse_index_base_22rocsparse_matrix_type_20rocsparse_fill_mode_23rocsparse_storage_mode_P22rocsparse_data_status_.num_agpr, 0
	.set _ZN9rocsparseL23check_matrix_csr_deviceILj256ELj64E21rocsparse_complex_numIfEiiEEvT3_S3_T2_PKT1_PKS4_PKS3_SB_21rocsparse_index_base_22rocsparse_matrix_type_20rocsparse_fill_mode_23rocsparse_storage_mode_P22rocsparse_data_status_.numbered_sgpr, 29
	.set _ZN9rocsparseL23check_matrix_csr_deviceILj256ELj64E21rocsparse_complex_numIfEiiEEvT3_S3_T2_PKT1_PKS4_PKS3_SB_21rocsparse_index_base_22rocsparse_matrix_type_20rocsparse_fill_mode_23rocsparse_storage_mode_P22rocsparse_data_status_.num_named_barrier, 0
	.set _ZN9rocsparseL23check_matrix_csr_deviceILj256ELj64E21rocsparse_complex_numIfEiiEEvT3_S3_T2_PKT1_PKS4_PKS3_SB_21rocsparse_index_base_22rocsparse_matrix_type_20rocsparse_fill_mode_23rocsparse_storage_mode_P22rocsparse_data_status_.private_seg_size, 0
	.set _ZN9rocsparseL23check_matrix_csr_deviceILj256ELj64E21rocsparse_complex_numIfEiiEEvT3_S3_T2_PKT1_PKS4_PKS3_SB_21rocsparse_index_base_22rocsparse_matrix_type_20rocsparse_fill_mode_23rocsparse_storage_mode_P22rocsparse_data_status_.uses_vcc, 1
	.set _ZN9rocsparseL23check_matrix_csr_deviceILj256ELj64E21rocsparse_complex_numIfEiiEEvT3_S3_T2_PKT1_PKS4_PKS3_SB_21rocsparse_index_base_22rocsparse_matrix_type_20rocsparse_fill_mode_23rocsparse_storage_mode_P22rocsparse_data_status_.uses_flat_scratch, 0
	.set _ZN9rocsparseL23check_matrix_csr_deviceILj256ELj64E21rocsparse_complex_numIfEiiEEvT3_S3_T2_PKT1_PKS4_PKS3_SB_21rocsparse_index_base_22rocsparse_matrix_type_20rocsparse_fill_mode_23rocsparse_storage_mode_P22rocsparse_data_status_.has_dyn_sized_stack, 0
	.set _ZN9rocsparseL23check_matrix_csr_deviceILj256ELj64E21rocsparse_complex_numIfEiiEEvT3_S3_T2_PKT1_PKS4_PKS3_SB_21rocsparse_index_base_22rocsparse_matrix_type_20rocsparse_fill_mode_23rocsparse_storage_mode_P22rocsparse_data_status_.has_recursion, 0
	.set _ZN9rocsparseL23check_matrix_csr_deviceILj256ELj64E21rocsparse_complex_numIfEiiEEvT3_S3_T2_PKT1_PKS4_PKS3_SB_21rocsparse_index_base_22rocsparse_matrix_type_20rocsparse_fill_mode_23rocsparse_storage_mode_P22rocsparse_data_status_.has_indirect_call, 0
	.section	.AMDGPU.csdata,"",@progbits
; Kernel info:
; codeLenInByte = 1032
; TotalNumSgprs: 31
; NumVgprs: 10
; ScratchSize: 0
; MemoryBound: 0
; FloatMode: 240
; IeeeMode: 1
; LDSByteSize: 0 bytes/workgroup (compile time only)
; SGPRBlocks: 0
; VGPRBlocks: 0
; NumSGPRsForWavesPerEU: 31
; NumVGPRsForWavesPerEU: 10
; NamedBarCnt: 0
; Occupancy: 16
; WaveLimiterHint : 0
; COMPUTE_PGM_RSRC2:SCRATCH_EN: 0
; COMPUTE_PGM_RSRC2:USER_SGPR: 2
; COMPUTE_PGM_RSRC2:TRAP_HANDLER: 0
; COMPUTE_PGM_RSRC2:TGID_X_EN: 1
; COMPUTE_PGM_RSRC2:TGID_Y_EN: 0
; COMPUTE_PGM_RSRC2:TGID_Z_EN: 0
; COMPUTE_PGM_RSRC2:TIDIG_COMP_CNT: 0
	.section	.text._ZN9rocsparseL23check_matrix_csr_deviceILj256ELj128E21rocsparse_complex_numIfEiiEEvT3_S3_T2_PKT1_PKS4_PKS3_SB_21rocsparse_index_base_22rocsparse_matrix_type_20rocsparse_fill_mode_23rocsparse_storage_mode_P22rocsparse_data_status_,"axG",@progbits,_ZN9rocsparseL23check_matrix_csr_deviceILj256ELj128E21rocsparse_complex_numIfEiiEEvT3_S3_T2_PKT1_PKS4_PKS3_SB_21rocsparse_index_base_22rocsparse_matrix_type_20rocsparse_fill_mode_23rocsparse_storage_mode_P22rocsparse_data_status_,comdat
	.globl	_ZN9rocsparseL23check_matrix_csr_deviceILj256ELj128E21rocsparse_complex_numIfEiiEEvT3_S3_T2_PKT1_PKS4_PKS3_SB_21rocsparse_index_base_22rocsparse_matrix_type_20rocsparse_fill_mode_23rocsparse_storage_mode_P22rocsparse_data_status_ ; -- Begin function _ZN9rocsparseL23check_matrix_csr_deviceILj256ELj128E21rocsparse_complex_numIfEiiEEvT3_S3_T2_PKT1_PKS4_PKS3_SB_21rocsparse_index_base_22rocsparse_matrix_type_20rocsparse_fill_mode_23rocsparse_storage_mode_P22rocsparse_data_status_
	.p2align	8
	.type	_ZN9rocsparseL23check_matrix_csr_deviceILj256ELj128E21rocsparse_complex_numIfEiiEEvT3_S3_T2_PKT1_PKS4_PKS3_SB_21rocsparse_index_base_22rocsparse_matrix_type_20rocsparse_fill_mode_23rocsparse_storage_mode_P22rocsparse_data_status_,@function
_ZN9rocsparseL23check_matrix_csr_deviceILj256ELj128E21rocsparse_complex_numIfEiiEEvT3_S3_T2_PKT1_PKS4_PKS3_SB_21rocsparse_index_base_22rocsparse_matrix_type_20rocsparse_fill_mode_23rocsparse_storage_mode_P22rocsparse_data_status_: ; @_ZN9rocsparseL23check_matrix_csr_deviceILj256ELj128E21rocsparse_complex_numIfEiiEEvT3_S3_T2_PKT1_PKS4_PKS3_SB_21rocsparse_index_base_22rocsparse_matrix_type_20rocsparse_fill_mode_23rocsparse_storage_mode_P22rocsparse_data_status_
; %bb.0:
	s_bfe_u32 s2, ttmp6, 0x4000c
	s_load_b64 s[12:13], s[0:1], 0x0
	s_add_co_i32 s2, s2, 1
	s_and_b32 s3, ttmp6, 15
	s_mul_i32 s2, ttmp9, s2
	s_getreg_b32 s4, hwreg(HW_REG_IB_STS2, 6, 4)
	s_add_co_i32 s3, s3, s2
	s_cmp_eq_u32 s4, 0
	s_cselect_b32 s2, ttmp9, s3
	s_delay_alu instid0(SALU_CYCLE_1) | instskip(SKIP_1) | instid1(VALU_DEP_1)
	v_lshl_or_b32 v1, s2, 8, v0
	s_mov_b32 s2, exec_lo
	v_lshrrev_b32_e32 v4, 7, v1
	s_wait_kmcnt 0x0
	s_delay_alu instid0(VALU_DEP_1)
	v_cmpx_gt_i32_e64 s12, v4
	s_cbranch_execz .LBB21_31
; %bb.1:
	s_load_b64 s[2:3], s[0:1], 0x18
	v_dual_lshlrev_b32 v1, 2, v4 :: v_dual_mov_b32 v7, 3
	s_wait_kmcnt 0x0
	global_load_b64 v[2:3], v1, s[2:3]
	s_wait_xcnt 0x0
	s_load_b32 s2, s[2:3], 0x0
	s_wait_loadcnt 0x0
	s_wait_kmcnt 0x0
	v_subrev_nc_u32_e32 v5, s2, v3
	v_subrev_nc_u32_e32 v6, s2, v2
	v_cmp_lt_i32_e64 s2, v3, v2
	s_delay_alu instid0(VALU_DEP_3) | instskip(NEXT) | instid1(VALU_DEP_3)
	v_cmp_gt_i32_e32 vcc_lo, 0, v5
	v_cmp_lt_i32_e64 s3, -1, v6
	s_or_b32 s2, vcc_lo, s2
	s_delay_alu instid0(SALU_CYCLE_1) | instskip(SKIP_2) | instid1(SALU_CYCLE_1)
	s_xor_b32 s4, s2, -1
	s_mov_b32 s2, -1
	s_and_b32 s3, s3, s4
	s_and_saveexec_b32 s12, s3
	s_cbranch_execz .LBB21_29
; %bb.2:
	v_and_b32_e32 v0, 0x7f, v0
	s_mov_b32 s2, 0
	s_mov_b32 s16, exec_lo
	s_delay_alu instid0(VALU_DEP_1) | instskip(NEXT) | instid1(VALU_DEP_1)
	v_dual_mov_b32 v7, 3 :: v_dual_add_nc_u32 v0, v6, v0
	v_cmpx_lt_u32_e64 v0, v5
	s_cbranch_execz .LBB21_28
; %bb.3:
	s_clause 0x1
	s_load_b256 s[4:11], s[0:1], 0x20
	s_load_b64 s[14:15], s[0:1], 0x10
                                        ; implicit-def: $sgpr18
                                        ; implicit-def: $sgpr19
                                        ; implicit-def: $sgpr20
	s_wait_kmcnt 0x0
	s_cmp_lg_u32 s9, 0
	s_cselect_b32 s9, -1, 0
	s_cmp_lg_u32 s10, 0
	s_cselect_b32 s10, -1, 0
	s_cmp_lg_u32 s11, 0
	s_mov_b32 s11, 0
	s_cselect_b32 s17, -1, 0
	s_branch .LBB21_10
.LBB21_4:                               ;   in Loop: Header=BB21_10 Depth=1
	s_or_b32 exec_lo, exec_lo, s27
	s_delay_alu instid0(SALU_CYCLE_1)
	s_or_not1_b32 s28, s3, exec_lo
	s_or_not1_b32 s2, s25, exec_lo
.LBB21_5:                               ;   in Loop: Header=BB21_10 Depth=1
	s_or_b32 exec_lo, exec_lo, s26
	s_delay_alu instid0(SALU_CYCLE_1)
	s_or_not1_b32 s3, s28, exec_lo
	s_or_not1_b32 s2, s2, exec_lo
.LBB21_6:                               ;   in Loop: Header=BB21_10 Depth=1
	s_or_b32 exec_lo, exec_lo, s24
	s_delay_alu instid0(SALU_CYCLE_1)
	s_or_not1_b32 s24, s3, exec_lo
	s_or_not1_b32 s3, s2, exec_lo
.LBB21_7:                               ;   in Loop: Header=BB21_10 Depth=1
	s_or_b32 exec_lo, exec_lo, s23
	s_delay_alu instid0(SALU_CYCLE_1)
	s_or_not1_b32 s23, s24, exec_lo
	s_or_not1_b32 s2, s3, exec_lo
.LBB21_8:                               ;   in Loop: Header=BB21_10 Depth=1
	s_or_b32 exec_lo, exec_lo, s22
	s_delay_alu instid0(SALU_CYCLE_1)
	s_and_not1_b32 s3, s20, exec_lo
	s_and_b32 s20, s23, exec_lo
	s_and_not1_b32 s19, s19, exec_lo
	s_and_b32 s2, s2, exec_lo
	s_or_b32 s20, s3, s20
	s_or_b32 s19, s19, s2
.LBB21_9:                               ;   in Loop: Header=BB21_10 Depth=1
	s_or_b32 exec_lo, exec_lo, s21
	s_delay_alu instid0(SALU_CYCLE_1) | instskip(NEXT) | instid1(SALU_CYCLE_1)
	s_and_b32 s2, exec_lo, s19
	s_or_b32 s11, s2, s11
	s_and_not1_b32 s2, s18, exec_lo
	s_and_b32 s3, s20, exec_lo
	s_delay_alu instid0(SALU_CYCLE_1)
	s_or_b32 s18, s2, s3
	s_and_not1_b32 exec_lo, exec_lo, s11
	s_cbranch_execz .LBB21_27
.LBB21_10:                              ; =>This Inner Loop Header: Depth=1
	global_load_b32 v8, v0, s[4:5] scale_offset
	v_mov_b32_e32 v7, 4
	s_or_b32 s20, s20, exec_lo
	s_or_b32 s19, s19, exec_lo
	s_wait_loadcnt 0x0
	v_subrev_nc_u32_e32 v9, s8, v8
	s_delay_alu instid0(VALU_DEP_1) | instskip(SKIP_2) | instid1(SALU_CYCLE_1)
	v_cmp_lt_i32_e32 vcc_lo, -1, v9
	v_cmp_gt_i32_e64 s2, s13, v9
	s_and_b32 s2, vcc_lo, s2
	s_and_saveexec_b32 s21, s2
	s_cbranch_execz .LBB21_9
; %bb.11:                               ;   in Loop: Header=BB21_10 Depth=1
	v_cmp_le_i32_e64 s25, v0, v6
	v_dual_ashrrev_i32 v1, 31, v0 :: v_dual_mov_b32 v7, 4
	s_mov_b32 s22, exec_lo
	s_mov_b32 s3, s25
	v_cmpx_gt_i32_e64 v0, v6
	s_cbranch_execz .LBB21_13
; %bb.12:                               ;   in Loop: Header=BB21_10 Depth=1
	v_lshl_add_u64 v[2:3], v[0:1], 2, s[6:7]
	global_load_b64 v[2:3], v[2:3], off offset:-4
	s_wait_loadcnt 0x0
	v_subrev_nc_u32_e32 v7, s8, v2
	v_cmp_ne_u32_e64 s3, v3, v2
	s_delay_alu instid0(VALU_DEP_2) | instskip(SKIP_3) | instid1(SALU_CYCLE_1)
	v_cmp_lt_i32_e32 vcc_lo, -1, v7
	v_cmp_gt_i32_e64 s2, s13, v7
	v_mov_b32_e32 v7, 5
	s_and_b32 s2, vcc_lo, s2
	s_xor_b32 s2, s2, -1
	s_delay_alu instid0(SALU_CYCLE_1) | instskip(SKIP_2) | instid1(SALU_CYCLE_1)
	s_or_b32 s2, s3, s2
	s_and_not1_b32 s3, s25, exec_lo
	s_and_b32 s2, s2, exec_lo
	s_or_b32 s3, s3, s2
.LBB21_13:                              ;   in Loop: Header=BB21_10 Depth=1
	s_or_b32 exec_lo, exec_lo, s22
	s_mov_b32 s2, -1
	s_mov_b32 s23, -1
	s_and_saveexec_b32 s22, s3
	s_cbranch_execz .LBB21_8
; %bb.14:                               ;   in Loop: Header=BB21_10 Depth=1
	v_lshl_add_u64 v[2:3], v[0:1], 3, s[14:15]
	v_mov_b32_e32 v7, 1
	s_mov_b32 s3, -1
	s_mov_b32 s24, -1
	global_load_b64 v[2:3], v[2:3], off
	s_wait_loadcnt 0x0
	v_cmp_neq_f32_e32 vcc_lo, 0x7f800000, v2
	v_cmp_neq_f32_e64 s2, 0x7f800000, v3
	s_and_b32 s2, vcc_lo, s2
	s_delay_alu instid0(SALU_CYCLE_1)
	s_and_saveexec_b32 s23, s2
	s_cbranch_execz .LBB21_7
; %bb.15:                               ;   in Loop: Header=BB21_10 Depth=1
	v_mov_b32_e32 v7, 2
	s_mov_b32 s2, -1
	s_mov_b32 s24, exec_lo
	v_cmpx_o_f32_e32 v2, v3
	s_cbranch_execz .LBB21_6
; %bb.16:                               ;   in Loop: Header=BB21_10 Depth=1
	s_and_b32 vcc_lo, exec_lo, s9
	s_cbranch_vccz .LBB21_19
; %bb.17:                               ;   in Loop: Header=BB21_10 Depth=1
	s_and_b32 vcc_lo, exec_lo, s10
	s_cbranch_vccz .LBB21_20
; %bb.18:                               ;   in Loop: Header=BB21_10 Depth=1
	v_cmp_le_i32_e32 vcc_lo, v4, v9
	s_mov_b32 s3, 7
	s_and_b32 s27, vcc_lo, exec_lo
	s_cbranch_execz .LBB21_21
	s_branch .LBB21_22
.LBB21_19:                              ;   in Loop: Header=BB21_10 Depth=1
	s_mov_b32 s3, 2
	s_mov_b32 s27, -1
	s_branch .LBB21_22
.LBB21_20:                              ;   in Loop: Header=BB21_10 Depth=1
	s_mov_b32 s27, 0
	s_mov_b32 s3, 2
.LBB21_21:                              ;   in Loop: Header=BB21_10 Depth=1
	v_cmp_ge_i32_e32 vcc_lo, v4, v9
	s_and_not1_b32 s26, s27, exec_lo
	s_mov_b32 s3, 7
	s_and_b32 s27, vcc_lo, exec_lo
	s_delay_alu instid0(SALU_CYCLE_1)
	s_or_b32 s27, s26, s27
.LBB21_22:                              ;   in Loop: Header=BB21_10 Depth=1
	v_mov_b32_e32 v7, s3
	s_mov_b32 s28, -1
	s_and_saveexec_b32 s26, s27
	s_cbranch_execz .LBB21_5
; %bb.23:                               ;   in Loop: Header=BB21_10 Depth=1
	v_mov_b32_e32 v7, s3
	s_nor_b32 s3, s17, s25
	s_mov_b32 s25, -1
	s_and_saveexec_b32 s27, s3
	s_cbranch_execz .LBB21_25
; %bb.24:                               ;   in Loop: Header=BB21_10 Depth=1
	v_lshl_add_u64 v[2:3], v[0:1], 2, s[4:5]
	v_mov_b32_e32 v7, 6
	global_load_b32 v1, v[2:3], off offset:-4
	s_wait_loadcnt 0x0
	v_subrev_nc_u32_e32 v2, s8, v1
	v_cmp_gt_i32_e64 s3, v8, v1
	s_delay_alu instid0(VALU_DEP_2) | instskip(SKIP_2) | instid1(SALU_CYCLE_1)
	v_cmp_lt_i32_e32 vcc_lo, -1, v2
	v_cmp_gt_i32_e64 s2, s13, v2
	s_and_b32 s2, vcc_lo, s2
	s_xor_b32 s2, s2, -1
	s_delay_alu instid0(SALU_CYCLE_1) | instskip(NEXT) | instid1(SALU_CYCLE_1)
	s_or_b32 s2, s3, s2
	s_or_not1_b32 s2, s2, exec_lo
.LBB21_25:                              ;   in Loop: Header=BB21_10 Depth=1
	s_or_b32 exec_lo, exec_lo, s27
	s_mov_b32 s3, -1
	s_and_saveexec_b32 s27, s2
	s_cbranch_execz .LBB21_4
; %bb.26:                               ;   in Loop: Header=BB21_10 Depth=1
	v_add_nc_u32_e32 v0, 0x80, v0
	s_xor_b32 s3, exec_lo, -1
	s_delay_alu instid0(VALU_DEP_1)
	v_cmp_ge_i32_e32 vcc_lo, v0, v5
	s_or_not1_b32 s25, vcc_lo, exec_lo
	s_branch .LBB21_4
.LBB21_27:
	s_or_b32 exec_lo, exec_lo, s11
	s_delay_alu instid0(SALU_CYCLE_1)
	s_and_b32 s2, s18, exec_lo
.LBB21_28:
	s_or_b32 exec_lo, exec_lo, s16
	s_delay_alu instid0(SALU_CYCLE_1)
	s_or_not1_b32 s2, s2, exec_lo
.LBB21_29:
	s_or_b32 exec_lo, exec_lo, s12
	s_delay_alu instid0(SALU_CYCLE_1)
	s_and_b32 exec_lo, exec_lo, s2
	s_cbranch_execz .LBB21_31
; %bb.30:
	s_load_b64 s[0:1], s[0:1], 0x40
	v_mov_b32_e32 v0, 0
	s_wait_kmcnt 0x0
	global_store_b32 v0, v7, s[0:1]
.LBB21_31:
	s_endpgm
	.section	.rodata,"a",@progbits
	.p2align	6, 0x0
	.amdhsa_kernel _ZN9rocsparseL23check_matrix_csr_deviceILj256ELj128E21rocsparse_complex_numIfEiiEEvT3_S3_T2_PKT1_PKS4_PKS3_SB_21rocsparse_index_base_22rocsparse_matrix_type_20rocsparse_fill_mode_23rocsparse_storage_mode_P22rocsparse_data_status_
		.amdhsa_group_segment_fixed_size 0
		.amdhsa_private_segment_fixed_size 0
		.amdhsa_kernarg_size 72
		.amdhsa_user_sgpr_count 2
		.amdhsa_user_sgpr_dispatch_ptr 0
		.amdhsa_user_sgpr_queue_ptr 0
		.amdhsa_user_sgpr_kernarg_segment_ptr 1
		.amdhsa_user_sgpr_dispatch_id 0
		.amdhsa_user_sgpr_kernarg_preload_length 0
		.amdhsa_user_sgpr_kernarg_preload_offset 0
		.amdhsa_user_sgpr_private_segment_size 0
		.amdhsa_wavefront_size32 1
		.amdhsa_uses_dynamic_stack 0
		.amdhsa_enable_private_segment 0
		.amdhsa_system_sgpr_workgroup_id_x 1
		.amdhsa_system_sgpr_workgroup_id_y 0
		.amdhsa_system_sgpr_workgroup_id_z 0
		.amdhsa_system_sgpr_workgroup_info 0
		.amdhsa_system_vgpr_workitem_id 0
		.amdhsa_next_free_vgpr 10
		.amdhsa_next_free_sgpr 29
		.amdhsa_named_barrier_count 0
		.amdhsa_reserve_vcc 1
		.amdhsa_float_round_mode_32 0
		.amdhsa_float_round_mode_16_64 0
		.amdhsa_float_denorm_mode_32 3
		.amdhsa_float_denorm_mode_16_64 3
		.amdhsa_fp16_overflow 0
		.amdhsa_memory_ordered 1
		.amdhsa_forward_progress 1
		.amdhsa_inst_pref_size 9
		.amdhsa_round_robin_scheduling 0
		.amdhsa_exception_fp_ieee_invalid_op 0
		.amdhsa_exception_fp_denorm_src 0
		.amdhsa_exception_fp_ieee_div_zero 0
		.amdhsa_exception_fp_ieee_overflow 0
		.amdhsa_exception_fp_ieee_underflow 0
		.amdhsa_exception_fp_ieee_inexact 0
		.amdhsa_exception_int_div_zero 0
	.end_amdhsa_kernel
	.section	.text._ZN9rocsparseL23check_matrix_csr_deviceILj256ELj128E21rocsparse_complex_numIfEiiEEvT3_S3_T2_PKT1_PKS4_PKS3_SB_21rocsparse_index_base_22rocsparse_matrix_type_20rocsparse_fill_mode_23rocsparse_storage_mode_P22rocsparse_data_status_,"axG",@progbits,_ZN9rocsparseL23check_matrix_csr_deviceILj256ELj128E21rocsparse_complex_numIfEiiEEvT3_S3_T2_PKT1_PKS4_PKS3_SB_21rocsparse_index_base_22rocsparse_matrix_type_20rocsparse_fill_mode_23rocsparse_storage_mode_P22rocsparse_data_status_,comdat
.Lfunc_end21:
	.size	_ZN9rocsparseL23check_matrix_csr_deviceILj256ELj128E21rocsparse_complex_numIfEiiEEvT3_S3_T2_PKT1_PKS4_PKS3_SB_21rocsparse_index_base_22rocsparse_matrix_type_20rocsparse_fill_mode_23rocsparse_storage_mode_P22rocsparse_data_status_, .Lfunc_end21-_ZN9rocsparseL23check_matrix_csr_deviceILj256ELj128E21rocsparse_complex_numIfEiiEEvT3_S3_T2_PKT1_PKS4_PKS3_SB_21rocsparse_index_base_22rocsparse_matrix_type_20rocsparse_fill_mode_23rocsparse_storage_mode_P22rocsparse_data_status_
                                        ; -- End function
	.set _ZN9rocsparseL23check_matrix_csr_deviceILj256ELj128E21rocsparse_complex_numIfEiiEEvT3_S3_T2_PKT1_PKS4_PKS3_SB_21rocsparse_index_base_22rocsparse_matrix_type_20rocsparse_fill_mode_23rocsparse_storage_mode_P22rocsparse_data_status_.num_vgpr, 10
	.set _ZN9rocsparseL23check_matrix_csr_deviceILj256ELj128E21rocsparse_complex_numIfEiiEEvT3_S3_T2_PKT1_PKS4_PKS3_SB_21rocsparse_index_base_22rocsparse_matrix_type_20rocsparse_fill_mode_23rocsparse_storage_mode_P22rocsparse_data_status_.num_agpr, 0
	.set _ZN9rocsparseL23check_matrix_csr_deviceILj256ELj128E21rocsparse_complex_numIfEiiEEvT3_S3_T2_PKT1_PKS4_PKS3_SB_21rocsparse_index_base_22rocsparse_matrix_type_20rocsparse_fill_mode_23rocsparse_storage_mode_P22rocsparse_data_status_.numbered_sgpr, 29
	.set _ZN9rocsparseL23check_matrix_csr_deviceILj256ELj128E21rocsparse_complex_numIfEiiEEvT3_S3_T2_PKT1_PKS4_PKS3_SB_21rocsparse_index_base_22rocsparse_matrix_type_20rocsparse_fill_mode_23rocsparse_storage_mode_P22rocsparse_data_status_.num_named_barrier, 0
	.set _ZN9rocsparseL23check_matrix_csr_deviceILj256ELj128E21rocsparse_complex_numIfEiiEEvT3_S3_T2_PKT1_PKS4_PKS3_SB_21rocsparse_index_base_22rocsparse_matrix_type_20rocsparse_fill_mode_23rocsparse_storage_mode_P22rocsparse_data_status_.private_seg_size, 0
	.set _ZN9rocsparseL23check_matrix_csr_deviceILj256ELj128E21rocsparse_complex_numIfEiiEEvT3_S3_T2_PKT1_PKS4_PKS3_SB_21rocsparse_index_base_22rocsparse_matrix_type_20rocsparse_fill_mode_23rocsparse_storage_mode_P22rocsparse_data_status_.uses_vcc, 1
	.set _ZN9rocsparseL23check_matrix_csr_deviceILj256ELj128E21rocsparse_complex_numIfEiiEEvT3_S3_T2_PKT1_PKS4_PKS3_SB_21rocsparse_index_base_22rocsparse_matrix_type_20rocsparse_fill_mode_23rocsparse_storage_mode_P22rocsparse_data_status_.uses_flat_scratch, 0
	.set _ZN9rocsparseL23check_matrix_csr_deviceILj256ELj128E21rocsparse_complex_numIfEiiEEvT3_S3_T2_PKT1_PKS4_PKS3_SB_21rocsparse_index_base_22rocsparse_matrix_type_20rocsparse_fill_mode_23rocsparse_storage_mode_P22rocsparse_data_status_.has_dyn_sized_stack, 0
	.set _ZN9rocsparseL23check_matrix_csr_deviceILj256ELj128E21rocsparse_complex_numIfEiiEEvT3_S3_T2_PKT1_PKS4_PKS3_SB_21rocsparse_index_base_22rocsparse_matrix_type_20rocsparse_fill_mode_23rocsparse_storage_mode_P22rocsparse_data_status_.has_recursion, 0
	.set _ZN9rocsparseL23check_matrix_csr_deviceILj256ELj128E21rocsparse_complex_numIfEiiEEvT3_S3_T2_PKT1_PKS4_PKS3_SB_21rocsparse_index_base_22rocsparse_matrix_type_20rocsparse_fill_mode_23rocsparse_storage_mode_P22rocsparse_data_status_.has_indirect_call, 0
	.section	.AMDGPU.csdata,"",@progbits
; Kernel info:
; codeLenInByte = 1036
; TotalNumSgprs: 31
; NumVgprs: 10
; ScratchSize: 0
; MemoryBound: 0
; FloatMode: 240
; IeeeMode: 1
; LDSByteSize: 0 bytes/workgroup (compile time only)
; SGPRBlocks: 0
; VGPRBlocks: 0
; NumSGPRsForWavesPerEU: 31
; NumVGPRsForWavesPerEU: 10
; NamedBarCnt: 0
; Occupancy: 16
; WaveLimiterHint : 0
; COMPUTE_PGM_RSRC2:SCRATCH_EN: 0
; COMPUTE_PGM_RSRC2:USER_SGPR: 2
; COMPUTE_PGM_RSRC2:TRAP_HANDLER: 0
; COMPUTE_PGM_RSRC2:TGID_X_EN: 1
; COMPUTE_PGM_RSRC2:TGID_Y_EN: 0
; COMPUTE_PGM_RSRC2:TGID_Z_EN: 0
; COMPUTE_PGM_RSRC2:TIDIG_COMP_CNT: 0
	.section	.text._ZN9rocsparseL23check_matrix_csr_deviceILj256ELj256E21rocsparse_complex_numIfEiiEEvT3_S3_T2_PKT1_PKS4_PKS3_SB_21rocsparse_index_base_22rocsparse_matrix_type_20rocsparse_fill_mode_23rocsparse_storage_mode_P22rocsparse_data_status_,"axG",@progbits,_ZN9rocsparseL23check_matrix_csr_deviceILj256ELj256E21rocsparse_complex_numIfEiiEEvT3_S3_T2_PKT1_PKS4_PKS3_SB_21rocsparse_index_base_22rocsparse_matrix_type_20rocsparse_fill_mode_23rocsparse_storage_mode_P22rocsparse_data_status_,comdat
	.globl	_ZN9rocsparseL23check_matrix_csr_deviceILj256ELj256E21rocsparse_complex_numIfEiiEEvT3_S3_T2_PKT1_PKS4_PKS3_SB_21rocsparse_index_base_22rocsparse_matrix_type_20rocsparse_fill_mode_23rocsparse_storage_mode_P22rocsparse_data_status_ ; -- Begin function _ZN9rocsparseL23check_matrix_csr_deviceILj256ELj256E21rocsparse_complex_numIfEiiEEvT3_S3_T2_PKT1_PKS4_PKS3_SB_21rocsparse_index_base_22rocsparse_matrix_type_20rocsparse_fill_mode_23rocsparse_storage_mode_P22rocsparse_data_status_
	.p2align	8
	.type	_ZN9rocsparseL23check_matrix_csr_deviceILj256ELj256E21rocsparse_complex_numIfEiiEEvT3_S3_T2_PKT1_PKS4_PKS3_SB_21rocsparse_index_base_22rocsparse_matrix_type_20rocsparse_fill_mode_23rocsparse_storage_mode_P22rocsparse_data_status_,@function
_ZN9rocsparseL23check_matrix_csr_deviceILj256ELj256E21rocsparse_complex_numIfEiiEEvT3_S3_T2_PKT1_PKS4_PKS3_SB_21rocsparse_index_base_22rocsparse_matrix_type_20rocsparse_fill_mode_23rocsparse_storage_mode_P22rocsparse_data_status_: ; @_ZN9rocsparseL23check_matrix_csr_deviceILj256ELj256E21rocsparse_complex_numIfEiiEEvT3_S3_T2_PKT1_PKS4_PKS3_SB_21rocsparse_index_base_22rocsparse_matrix_type_20rocsparse_fill_mode_23rocsparse_storage_mode_P22rocsparse_data_status_
; %bb.0:
	s_load_b64 s[12:13], s[0:1], 0x0
	s_bfe_u32 s2, ttmp6, 0x4000c
	s_and_b32 s3, ttmp6, 15
	s_add_co_i32 s2, s2, 1
	s_getreg_b32 s4, hwreg(HW_REG_IB_STS2, 6, 4)
	s_mul_i32 s2, ttmp9, s2
	s_delay_alu instid0(SALU_CYCLE_1) | instskip(SKIP_2) | instid1(SALU_CYCLE_1)
	s_add_co_i32 s3, s3, s2
	s_cmp_eq_u32 s4, 0
	s_cselect_b32 s2, ttmp9, s3
	s_and_b32 s16, s2, 0xffffff
	s_wait_kmcnt 0x0
	s_cmp_lt_i32 s16, s12
	s_cselect_b32 s2, -1, 0
	s_delay_alu instid0(SALU_CYCLE_1)
	s_and_saveexec_b32 s3, s2
	s_cbranch_execz .LBB22_31
; %bb.1:
	s_load_b64 s[2:3], s[0:1], 0x18
	v_lshlrev_b32_e64 v1, 2, s16
	v_mov_b32_e32 v6, 3
	s_wait_kmcnt 0x0
	global_load_b64 v[2:3], v1, s[2:3]
	s_wait_xcnt 0x0
	s_load_b32 s2, s[2:3], 0x0
	s_wait_loadcnt 0x0
	s_wait_kmcnt 0x0
	v_subrev_nc_u32_e32 v4, s2, v3
	v_subrev_nc_u32_e32 v5, s2, v2
	v_cmp_lt_i32_e64 s2, v3, v2
	s_delay_alu instid0(VALU_DEP_3) | instskip(NEXT) | instid1(VALU_DEP_3)
	v_cmp_gt_i32_e32 vcc_lo, 0, v4
	v_cmp_lt_i32_e64 s3, -1, v5
	s_or_b32 s2, vcc_lo, s2
	s_delay_alu instid0(SALU_CYCLE_1) | instskip(SKIP_2) | instid1(SALU_CYCLE_1)
	s_xor_b32 s4, s2, -1
	s_mov_b32 s2, -1
	s_and_b32 s3, s3, s4
	s_and_saveexec_b32 s12, s3
	s_cbranch_execz .LBB22_29
; %bb.2:
	v_dual_add_nc_u32 v0, v5, v0 :: v_dual_mov_b32 v6, 3
	s_mov_b32 s2, 0
	s_mov_b32 s17, exec_lo
	s_delay_alu instid0(VALU_DEP_1)
	v_cmpx_lt_u32_e64 v0, v4
	s_cbranch_execz .LBB22_28
; %bb.3:
	s_clause 0x1
	s_load_b256 s[4:11], s[0:1], 0x20
	s_load_b64 s[14:15], s[0:1], 0x10
                                        ; implicit-def: $sgpr19
                                        ; implicit-def: $sgpr20
                                        ; implicit-def: $sgpr21
	s_wait_kmcnt 0x0
	s_cmp_lg_u32 s9, 0
	s_cselect_b32 s9, -1, 0
	s_cmp_lg_u32 s10, 0
	s_cselect_b32 s10, -1, 0
	s_cmp_lg_u32 s11, 0
	s_mov_b32 s11, 0
	s_cselect_b32 s18, -1, 0
	s_branch .LBB22_10
.LBB22_4:                               ;   in Loop: Header=BB22_10 Depth=1
	s_or_b32 exec_lo, exec_lo, s28
	s_delay_alu instid0(SALU_CYCLE_1)
	s_or_not1_b32 s29, s3, exec_lo
	s_or_not1_b32 s2, s26, exec_lo
.LBB22_5:                               ;   in Loop: Header=BB22_10 Depth=1
	s_or_b32 exec_lo, exec_lo, s27
	s_delay_alu instid0(SALU_CYCLE_1)
	s_or_not1_b32 s3, s29, exec_lo
	s_or_not1_b32 s2, s2, exec_lo
.LBB22_6:                               ;   in Loop: Header=BB22_10 Depth=1
	s_or_b32 exec_lo, exec_lo, s25
	s_delay_alu instid0(SALU_CYCLE_1)
	s_or_not1_b32 s25, s3, exec_lo
	s_or_not1_b32 s3, s2, exec_lo
.LBB22_7:                               ;   in Loop: Header=BB22_10 Depth=1
	s_or_b32 exec_lo, exec_lo, s24
	s_delay_alu instid0(SALU_CYCLE_1)
	s_or_not1_b32 s24, s25, exec_lo
	s_or_not1_b32 s2, s3, exec_lo
.LBB22_8:                               ;   in Loop: Header=BB22_10 Depth=1
	s_or_b32 exec_lo, exec_lo, s23
	s_delay_alu instid0(SALU_CYCLE_1)
	s_and_not1_b32 s3, s21, exec_lo
	s_and_b32 s21, s24, exec_lo
	s_and_not1_b32 s20, s20, exec_lo
	s_and_b32 s2, s2, exec_lo
	s_or_b32 s21, s3, s21
	s_or_b32 s20, s20, s2
.LBB22_9:                               ;   in Loop: Header=BB22_10 Depth=1
	s_or_b32 exec_lo, exec_lo, s22
	s_delay_alu instid0(SALU_CYCLE_1) | instskip(NEXT) | instid1(SALU_CYCLE_1)
	s_and_b32 s2, exec_lo, s20
	s_or_b32 s11, s2, s11
	s_and_not1_b32 s2, s19, exec_lo
	s_and_b32 s3, s21, exec_lo
	s_delay_alu instid0(SALU_CYCLE_1)
	s_or_b32 s19, s2, s3
	s_and_not1_b32 exec_lo, exec_lo, s11
	s_cbranch_execz .LBB22_27
.LBB22_10:                              ; =>This Inner Loop Header: Depth=1
	global_load_b32 v7, v0, s[4:5] scale_offset
	v_mov_b32_e32 v6, 4
	s_or_b32 s21, s21, exec_lo
	s_or_b32 s20, s20, exec_lo
	s_wait_loadcnt 0x0
	v_subrev_nc_u32_e32 v8, s8, v7
	s_delay_alu instid0(VALU_DEP_1) | instskip(SKIP_2) | instid1(SALU_CYCLE_1)
	v_cmp_lt_i32_e32 vcc_lo, -1, v8
	v_cmp_gt_i32_e64 s2, s13, v8
	s_and_b32 s2, vcc_lo, s2
	s_and_saveexec_b32 s22, s2
	s_cbranch_execz .LBB22_9
; %bb.11:                               ;   in Loop: Header=BB22_10 Depth=1
	v_cmp_le_i32_e64 s26, v0, v5
	v_dual_mov_b32 v6, 4 :: v_dual_ashrrev_i32 v1, 31, v0
	s_mov_b32 s23, exec_lo
	s_mov_b32 s3, s26
	v_cmpx_gt_i32_e64 v0, v5
	s_cbranch_execz .LBB22_13
; %bb.12:                               ;   in Loop: Header=BB22_10 Depth=1
	v_lshl_add_u64 v[2:3], v[0:1], 2, s[6:7]
	global_load_b64 v[2:3], v[2:3], off offset:-4
	s_wait_loadcnt 0x0
	v_subrev_nc_u32_e32 v6, s8, v2
	v_cmp_ne_u32_e64 s3, v3, v2
	s_delay_alu instid0(VALU_DEP_2) | instskip(SKIP_3) | instid1(SALU_CYCLE_1)
	v_cmp_lt_i32_e32 vcc_lo, -1, v6
	v_cmp_gt_i32_e64 s2, s13, v6
	v_mov_b32_e32 v6, 5
	s_and_b32 s2, vcc_lo, s2
	s_xor_b32 s2, s2, -1
	s_delay_alu instid0(SALU_CYCLE_1) | instskip(SKIP_2) | instid1(SALU_CYCLE_1)
	s_or_b32 s2, s3, s2
	s_and_not1_b32 s3, s26, exec_lo
	s_and_b32 s2, s2, exec_lo
	s_or_b32 s3, s3, s2
.LBB22_13:                              ;   in Loop: Header=BB22_10 Depth=1
	s_or_b32 exec_lo, exec_lo, s23
	s_mov_b32 s2, -1
	s_mov_b32 s24, -1
	s_and_saveexec_b32 s23, s3
	s_cbranch_execz .LBB22_8
; %bb.14:                               ;   in Loop: Header=BB22_10 Depth=1
	v_lshl_add_u64 v[2:3], v[0:1], 3, s[14:15]
	v_mov_b32_e32 v6, 1
	s_mov_b32 s3, -1
	s_mov_b32 s25, -1
	global_load_b64 v[2:3], v[2:3], off
	s_wait_loadcnt 0x0
	v_cmp_neq_f32_e32 vcc_lo, 0x7f800000, v2
	v_cmp_neq_f32_e64 s2, 0x7f800000, v3
	s_and_b32 s2, vcc_lo, s2
	s_delay_alu instid0(SALU_CYCLE_1)
	s_and_saveexec_b32 s24, s2
	s_cbranch_execz .LBB22_7
; %bb.15:                               ;   in Loop: Header=BB22_10 Depth=1
	v_mov_b32_e32 v6, 2
	s_mov_b32 s2, -1
	s_mov_b32 s25, exec_lo
	v_cmpx_o_f32_e32 v2, v3
	s_cbranch_execz .LBB22_6
; %bb.16:                               ;   in Loop: Header=BB22_10 Depth=1
	s_and_b32 vcc_lo, exec_lo, s9
	s_cbranch_vccz .LBB22_19
; %bb.17:                               ;   in Loop: Header=BB22_10 Depth=1
	s_and_b32 vcc_lo, exec_lo, s10
	s_cbranch_vccz .LBB22_20
; %bb.18:                               ;   in Loop: Header=BB22_10 Depth=1
	v_cmp_le_i32_e32 vcc_lo, s16, v8
	s_mov_b32 s3, 7
	s_and_b32 s28, vcc_lo, exec_lo
	s_cbranch_execz .LBB22_21
	s_branch .LBB22_22
.LBB22_19:                              ;   in Loop: Header=BB22_10 Depth=1
	s_mov_b32 s3, 2
	s_mov_b32 s28, -1
	s_branch .LBB22_22
.LBB22_20:                              ;   in Loop: Header=BB22_10 Depth=1
	s_mov_b32 s28, 0
	s_mov_b32 s3, 2
.LBB22_21:                              ;   in Loop: Header=BB22_10 Depth=1
	v_cmp_ge_i32_e32 vcc_lo, s16, v8
	s_and_not1_b32 s27, s28, exec_lo
	s_mov_b32 s3, 7
	s_and_b32 s28, vcc_lo, exec_lo
	s_delay_alu instid0(SALU_CYCLE_1)
	s_or_b32 s28, s27, s28
.LBB22_22:                              ;   in Loop: Header=BB22_10 Depth=1
	v_mov_b32_e32 v6, s3
	s_mov_b32 s29, -1
	s_and_saveexec_b32 s27, s28
	s_cbranch_execz .LBB22_5
; %bb.23:                               ;   in Loop: Header=BB22_10 Depth=1
	v_mov_b32_e32 v6, s3
	s_nor_b32 s3, s18, s26
	s_mov_b32 s26, -1
	s_and_saveexec_b32 s28, s3
	s_cbranch_execz .LBB22_25
; %bb.24:                               ;   in Loop: Header=BB22_10 Depth=1
	v_lshl_add_u64 v[2:3], v[0:1], 2, s[4:5]
	v_mov_b32_e32 v6, 6
	global_load_b32 v1, v[2:3], off offset:-4
	s_wait_loadcnt 0x0
	v_subrev_nc_u32_e32 v2, s8, v1
	v_cmp_gt_i32_e64 s3, v7, v1
	s_delay_alu instid0(VALU_DEP_2) | instskip(SKIP_2) | instid1(SALU_CYCLE_1)
	v_cmp_lt_i32_e32 vcc_lo, -1, v2
	v_cmp_gt_i32_e64 s2, s13, v2
	s_and_b32 s2, vcc_lo, s2
	s_xor_b32 s2, s2, -1
	s_delay_alu instid0(SALU_CYCLE_1) | instskip(NEXT) | instid1(SALU_CYCLE_1)
	s_or_b32 s2, s3, s2
	s_or_not1_b32 s2, s2, exec_lo
.LBB22_25:                              ;   in Loop: Header=BB22_10 Depth=1
	s_or_b32 exec_lo, exec_lo, s28
	s_mov_b32 s3, -1
	s_and_saveexec_b32 s28, s2
	s_cbranch_execz .LBB22_4
; %bb.26:                               ;   in Loop: Header=BB22_10 Depth=1
	v_add_nc_u32_e32 v0, 0x100, v0
	s_xor_b32 s3, exec_lo, -1
	s_delay_alu instid0(VALU_DEP_1)
	v_cmp_ge_i32_e32 vcc_lo, v0, v4
	s_or_not1_b32 s26, vcc_lo, exec_lo
	s_branch .LBB22_4
.LBB22_27:
	s_or_b32 exec_lo, exec_lo, s11
	s_delay_alu instid0(SALU_CYCLE_1)
	s_and_b32 s2, s19, exec_lo
.LBB22_28:
	s_or_b32 exec_lo, exec_lo, s17
	s_delay_alu instid0(SALU_CYCLE_1)
	s_or_not1_b32 s2, s2, exec_lo
.LBB22_29:
	s_or_b32 exec_lo, exec_lo, s12
	s_delay_alu instid0(SALU_CYCLE_1)
	s_and_b32 exec_lo, exec_lo, s2
	s_cbranch_execz .LBB22_31
; %bb.30:
	s_load_b64 s[0:1], s[0:1], 0x40
	v_mov_b32_e32 v0, 0
	s_wait_kmcnt 0x0
	global_store_b32 v0, v6, s[0:1]
.LBB22_31:
	s_endpgm
	.section	.rodata,"a",@progbits
	.p2align	6, 0x0
	.amdhsa_kernel _ZN9rocsparseL23check_matrix_csr_deviceILj256ELj256E21rocsparse_complex_numIfEiiEEvT3_S3_T2_PKT1_PKS4_PKS3_SB_21rocsparse_index_base_22rocsparse_matrix_type_20rocsparse_fill_mode_23rocsparse_storage_mode_P22rocsparse_data_status_
		.amdhsa_group_segment_fixed_size 0
		.amdhsa_private_segment_fixed_size 0
		.amdhsa_kernarg_size 72
		.amdhsa_user_sgpr_count 2
		.amdhsa_user_sgpr_dispatch_ptr 0
		.amdhsa_user_sgpr_queue_ptr 0
		.amdhsa_user_sgpr_kernarg_segment_ptr 1
		.amdhsa_user_sgpr_dispatch_id 0
		.amdhsa_user_sgpr_kernarg_preload_length 0
		.amdhsa_user_sgpr_kernarg_preload_offset 0
		.amdhsa_user_sgpr_private_segment_size 0
		.amdhsa_wavefront_size32 1
		.amdhsa_uses_dynamic_stack 0
		.amdhsa_enable_private_segment 0
		.amdhsa_system_sgpr_workgroup_id_x 1
		.amdhsa_system_sgpr_workgroup_id_y 0
		.amdhsa_system_sgpr_workgroup_id_z 0
		.amdhsa_system_sgpr_workgroup_info 0
		.amdhsa_system_vgpr_workitem_id 0
		.amdhsa_next_free_vgpr 9
		.amdhsa_next_free_sgpr 30
		.amdhsa_named_barrier_count 0
		.amdhsa_reserve_vcc 1
		.amdhsa_float_round_mode_32 0
		.amdhsa_float_round_mode_16_64 0
		.amdhsa_float_denorm_mode_32 3
		.amdhsa_float_denorm_mode_16_64 3
		.amdhsa_fp16_overflow 0
		.amdhsa_memory_ordered 1
		.amdhsa_forward_progress 1
		.amdhsa_inst_pref_size 8
		.amdhsa_round_robin_scheduling 0
		.amdhsa_exception_fp_ieee_invalid_op 0
		.amdhsa_exception_fp_denorm_src 0
		.amdhsa_exception_fp_ieee_div_zero 0
		.amdhsa_exception_fp_ieee_overflow 0
		.amdhsa_exception_fp_ieee_underflow 0
		.amdhsa_exception_fp_ieee_inexact 0
		.amdhsa_exception_int_div_zero 0
	.end_amdhsa_kernel
	.section	.text._ZN9rocsparseL23check_matrix_csr_deviceILj256ELj256E21rocsparse_complex_numIfEiiEEvT3_S3_T2_PKT1_PKS4_PKS3_SB_21rocsparse_index_base_22rocsparse_matrix_type_20rocsparse_fill_mode_23rocsparse_storage_mode_P22rocsparse_data_status_,"axG",@progbits,_ZN9rocsparseL23check_matrix_csr_deviceILj256ELj256E21rocsparse_complex_numIfEiiEEvT3_S3_T2_PKT1_PKS4_PKS3_SB_21rocsparse_index_base_22rocsparse_matrix_type_20rocsparse_fill_mode_23rocsparse_storage_mode_P22rocsparse_data_status_,comdat
.Lfunc_end22:
	.size	_ZN9rocsparseL23check_matrix_csr_deviceILj256ELj256E21rocsparse_complex_numIfEiiEEvT3_S3_T2_PKT1_PKS4_PKS3_SB_21rocsparse_index_base_22rocsparse_matrix_type_20rocsparse_fill_mode_23rocsparse_storage_mode_P22rocsparse_data_status_, .Lfunc_end22-_ZN9rocsparseL23check_matrix_csr_deviceILj256ELj256E21rocsparse_complex_numIfEiiEEvT3_S3_T2_PKT1_PKS4_PKS3_SB_21rocsparse_index_base_22rocsparse_matrix_type_20rocsparse_fill_mode_23rocsparse_storage_mode_P22rocsparse_data_status_
                                        ; -- End function
	.set _ZN9rocsparseL23check_matrix_csr_deviceILj256ELj256E21rocsparse_complex_numIfEiiEEvT3_S3_T2_PKT1_PKS4_PKS3_SB_21rocsparse_index_base_22rocsparse_matrix_type_20rocsparse_fill_mode_23rocsparse_storage_mode_P22rocsparse_data_status_.num_vgpr, 9
	.set _ZN9rocsparseL23check_matrix_csr_deviceILj256ELj256E21rocsparse_complex_numIfEiiEEvT3_S3_T2_PKT1_PKS4_PKS3_SB_21rocsparse_index_base_22rocsparse_matrix_type_20rocsparse_fill_mode_23rocsparse_storage_mode_P22rocsparse_data_status_.num_agpr, 0
	.set _ZN9rocsparseL23check_matrix_csr_deviceILj256ELj256E21rocsparse_complex_numIfEiiEEvT3_S3_T2_PKT1_PKS4_PKS3_SB_21rocsparse_index_base_22rocsparse_matrix_type_20rocsparse_fill_mode_23rocsparse_storage_mode_P22rocsparse_data_status_.numbered_sgpr, 30
	.set _ZN9rocsparseL23check_matrix_csr_deviceILj256ELj256E21rocsparse_complex_numIfEiiEEvT3_S3_T2_PKT1_PKS4_PKS3_SB_21rocsparse_index_base_22rocsparse_matrix_type_20rocsparse_fill_mode_23rocsparse_storage_mode_P22rocsparse_data_status_.num_named_barrier, 0
	.set _ZN9rocsparseL23check_matrix_csr_deviceILj256ELj256E21rocsparse_complex_numIfEiiEEvT3_S3_T2_PKT1_PKS4_PKS3_SB_21rocsparse_index_base_22rocsparse_matrix_type_20rocsparse_fill_mode_23rocsparse_storage_mode_P22rocsparse_data_status_.private_seg_size, 0
	.set _ZN9rocsparseL23check_matrix_csr_deviceILj256ELj256E21rocsparse_complex_numIfEiiEEvT3_S3_T2_PKT1_PKS4_PKS3_SB_21rocsparse_index_base_22rocsparse_matrix_type_20rocsparse_fill_mode_23rocsparse_storage_mode_P22rocsparse_data_status_.uses_vcc, 1
	.set _ZN9rocsparseL23check_matrix_csr_deviceILj256ELj256E21rocsparse_complex_numIfEiiEEvT3_S3_T2_PKT1_PKS4_PKS3_SB_21rocsparse_index_base_22rocsparse_matrix_type_20rocsparse_fill_mode_23rocsparse_storage_mode_P22rocsparse_data_status_.uses_flat_scratch, 0
	.set _ZN9rocsparseL23check_matrix_csr_deviceILj256ELj256E21rocsparse_complex_numIfEiiEEvT3_S3_T2_PKT1_PKS4_PKS3_SB_21rocsparse_index_base_22rocsparse_matrix_type_20rocsparse_fill_mode_23rocsparse_storage_mode_P22rocsparse_data_status_.has_dyn_sized_stack, 0
	.set _ZN9rocsparseL23check_matrix_csr_deviceILj256ELj256E21rocsparse_complex_numIfEiiEEvT3_S3_T2_PKT1_PKS4_PKS3_SB_21rocsparse_index_base_22rocsparse_matrix_type_20rocsparse_fill_mode_23rocsparse_storage_mode_P22rocsparse_data_status_.has_recursion, 0
	.set _ZN9rocsparseL23check_matrix_csr_deviceILj256ELj256E21rocsparse_complex_numIfEiiEEvT3_S3_T2_PKT1_PKS4_PKS3_SB_21rocsparse_index_base_22rocsparse_matrix_type_20rocsparse_fill_mode_23rocsparse_storage_mode_P22rocsparse_data_status_.has_indirect_call, 0
	.section	.AMDGPU.csdata,"",@progbits
; Kernel info:
; codeLenInByte = 1024
; TotalNumSgprs: 32
; NumVgprs: 9
; ScratchSize: 0
; MemoryBound: 0
; FloatMode: 240
; IeeeMode: 1
; LDSByteSize: 0 bytes/workgroup (compile time only)
; SGPRBlocks: 0
; VGPRBlocks: 0
; NumSGPRsForWavesPerEU: 32
; NumVGPRsForWavesPerEU: 9
; NamedBarCnt: 0
; Occupancy: 16
; WaveLimiterHint : 0
; COMPUTE_PGM_RSRC2:SCRATCH_EN: 0
; COMPUTE_PGM_RSRC2:USER_SGPR: 2
; COMPUTE_PGM_RSRC2:TRAP_HANDLER: 0
; COMPUTE_PGM_RSRC2:TGID_X_EN: 1
; COMPUTE_PGM_RSRC2:TGID_Y_EN: 0
; COMPUTE_PGM_RSRC2:TGID_Z_EN: 0
; COMPUTE_PGM_RSRC2:TIDIG_COMP_CNT: 0
	.section	.text._ZN9rocsparseL23check_matrix_csr_deviceILj256ELj4E21rocsparse_complex_numIdEiiEEvT3_S3_T2_PKT1_PKS4_PKS3_SB_21rocsparse_index_base_22rocsparse_matrix_type_20rocsparse_fill_mode_23rocsparse_storage_mode_P22rocsparse_data_status_,"axG",@progbits,_ZN9rocsparseL23check_matrix_csr_deviceILj256ELj4E21rocsparse_complex_numIdEiiEEvT3_S3_T2_PKT1_PKS4_PKS3_SB_21rocsparse_index_base_22rocsparse_matrix_type_20rocsparse_fill_mode_23rocsparse_storage_mode_P22rocsparse_data_status_,comdat
	.globl	_ZN9rocsparseL23check_matrix_csr_deviceILj256ELj4E21rocsparse_complex_numIdEiiEEvT3_S3_T2_PKT1_PKS4_PKS3_SB_21rocsparse_index_base_22rocsparse_matrix_type_20rocsparse_fill_mode_23rocsparse_storage_mode_P22rocsparse_data_status_ ; -- Begin function _ZN9rocsparseL23check_matrix_csr_deviceILj256ELj4E21rocsparse_complex_numIdEiiEEvT3_S3_T2_PKT1_PKS4_PKS3_SB_21rocsparse_index_base_22rocsparse_matrix_type_20rocsparse_fill_mode_23rocsparse_storage_mode_P22rocsparse_data_status_
	.p2align	8
	.type	_ZN9rocsparseL23check_matrix_csr_deviceILj256ELj4E21rocsparse_complex_numIdEiiEEvT3_S3_T2_PKT1_PKS4_PKS3_SB_21rocsparse_index_base_22rocsparse_matrix_type_20rocsparse_fill_mode_23rocsparse_storage_mode_P22rocsparse_data_status_,@function
_ZN9rocsparseL23check_matrix_csr_deviceILj256ELj4E21rocsparse_complex_numIdEiiEEvT3_S3_T2_PKT1_PKS4_PKS3_SB_21rocsparse_index_base_22rocsparse_matrix_type_20rocsparse_fill_mode_23rocsparse_storage_mode_P22rocsparse_data_status_: ; @_ZN9rocsparseL23check_matrix_csr_deviceILj256ELj4E21rocsparse_complex_numIdEiiEEvT3_S3_T2_PKT1_PKS4_PKS3_SB_21rocsparse_index_base_22rocsparse_matrix_type_20rocsparse_fill_mode_23rocsparse_storage_mode_P22rocsparse_data_status_
; %bb.0:
	s_bfe_u32 s2, ttmp6, 0x4000c
	s_load_b64 s[12:13], s[0:1], 0x0
	s_add_co_i32 s2, s2, 1
	s_and_b32 s3, ttmp6, 15
	s_mul_i32 s2, ttmp9, s2
	s_getreg_b32 s4, hwreg(HW_REG_IB_STS2, 6, 4)
	s_add_co_i32 s3, s3, s2
	s_cmp_eq_u32 s4, 0
	s_cselect_b32 s2, ttmp9, s3
	s_delay_alu instid0(SALU_CYCLE_1) | instskip(SKIP_1) | instid1(VALU_DEP_1)
	v_lshl_or_b32 v1, s2, 8, v0
	s_mov_b32 s2, exec_lo
	v_lshrrev_b32_e32 v6, 2, v1
	s_wait_kmcnt 0x0
	s_delay_alu instid0(VALU_DEP_1)
	v_cmpx_gt_i32_e64 s12, v6
	s_cbranch_execz .LBB23_31
; %bb.1:
	s_load_b64 s[2:3], s[0:1], 0x18
	v_dual_lshlrev_b32 v1, 2, v6 :: v_dual_mov_b32 v9, 3
	s_wait_kmcnt 0x0
	global_load_b64 v[2:3], v1, s[2:3]
	s_wait_xcnt 0x0
	s_load_b32 s2, s[2:3], 0x0
	s_wait_loadcnt 0x0
	s_wait_kmcnt 0x0
	v_subrev_nc_u32_e32 v7, s2, v3
	v_subrev_nc_u32_e32 v8, s2, v2
	v_cmp_lt_i32_e64 s2, v3, v2
	s_delay_alu instid0(VALU_DEP_3) | instskip(NEXT) | instid1(VALU_DEP_3)
	v_cmp_gt_i32_e32 vcc_lo, 0, v7
	v_cmp_lt_i32_e64 s3, -1, v8
	s_or_b32 s2, vcc_lo, s2
	s_delay_alu instid0(SALU_CYCLE_1) | instskip(SKIP_2) | instid1(SALU_CYCLE_1)
	s_xor_b32 s4, s2, -1
	s_mov_b32 s2, -1
	s_and_b32 s3, s3, s4
	s_and_saveexec_b32 s12, s3
	s_cbranch_execz .LBB23_29
; %bb.2:
	v_dual_mov_b32 v9, 3 :: v_dual_bitop2_b32 v0, 3, v0 bitop3:0x40
	s_mov_b32 s2, 0
	s_mov_b32 s16, exec_lo
	s_delay_alu instid0(VALU_DEP_1) | instskip(NEXT) | instid1(VALU_DEP_1)
	v_add_nc_u32_e32 v4, v8, v0
	v_cmpx_lt_u32_e64 v4, v7
	s_cbranch_execz .LBB23_28
; %bb.3:
	s_clause 0x1
	s_load_b256 s[4:11], s[0:1], 0x20
	s_load_b64 s[14:15], s[0:1], 0x10
                                        ; implicit-def: $sgpr18
                                        ; implicit-def: $sgpr19
                                        ; implicit-def: $sgpr20
	s_wait_kmcnt 0x0
	s_cmp_lg_u32 s9, 0
	s_cselect_b32 s9, -1, 0
	s_cmp_lg_u32 s10, 0
	s_cselect_b32 s10, -1, 0
	s_cmp_lg_u32 s11, 0
	s_mov_b32 s11, 0
	s_cselect_b32 s17, -1, 0
	s_branch .LBB23_10
.LBB23_4:                               ;   in Loop: Header=BB23_10 Depth=1
	s_or_b32 exec_lo, exec_lo, s27
	s_delay_alu instid0(SALU_CYCLE_1)
	s_or_not1_b32 s28, s3, exec_lo
	s_or_not1_b32 s2, s25, exec_lo
.LBB23_5:                               ;   in Loop: Header=BB23_10 Depth=1
	s_or_b32 exec_lo, exec_lo, s26
	s_delay_alu instid0(SALU_CYCLE_1)
	s_or_not1_b32 s3, s28, exec_lo
	s_or_not1_b32 s2, s2, exec_lo
.LBB23_6:                               ;   in Loop: Header=BB23_10 Depth=1
	s_or_b32 exec_lo, exec_lo, s24
	s_delay_alu instid0(SALU_CYCLE_1)
	s_or_not1_b32 s24, s3, exec_lo
	s_or_not1_b32 s3, s2, exec_lo
.LBB23_7:                               ;   in Loop: Header=BB23_10 Depth=1
	s_or_b32 exec_lo, exec_lo, s23
	s_delay_alu instid0(SALU_CYCLE_1)
	s_or_not1_b32 s23, s24, exec_lo
	s_or_not1_b32 s2, s3, exec_lo
.LBB23_8:                               ;   in Loop: Header=BB23_10 Depth=1
	s_or_b32 exec_lo, exec_lo, s22
	s_delay_alu instid0(SALU_CYCLE_1)
	s_and_not1_b32 s3, s20, exec_lo
	s_and_b32 s20, s23, exec_lo
	s_and_not1_b32 s19, s19, exec_lo
	s_and_b32 s2, s2, exec_lo
	s_or_b32 s20, s3, s20
	s_or_b32 s19, s19, s2
.LBB23_9:                               ;   in Loop: Header=BB23_10 Depth=1
	s_or_b32 exec_lo, exec_lo, s21
	s_delay_alu instid0(SALU_CYCLE_1) | instskip(NEXT) | instid1(SALU_CYCLE_1)
	s_and_b32 s2, exec_lo, s19
	s_or_b32 s11, s2, s11
	s_and_not1_b32 s2, s18, exec_lo
	s_and_b32 s3, s20, exec_lo
	s_delay_alu instid0(SALU_CYCLE_1)
	s_or_b32 s18, s2, s3
	s_and_not1_b32 exec_lo, exec_lo, s11
	s_cbranch_execz .LBB23_27
.LBB23_10:                              ; =>This Inner Loop Header: Depth=1
	global_load_b32 v10, v4, s[4:5] scale_offset
	v_mov_b32_e32 v9, 4
	s_or_b32 s20, s20, exec_lo
	s_or_b32 s19, s19, exec_lo
	s_wait_loadcnt 0x0
	v_subrev_nc_u32_e32 v11, s8, v10
	s_delay_alu instid0(VALU_DEP_1) | instskip(SKIP_2) | instid1(SALU_CYCLE_1)
	v_cmp_lt_i32_e32 vcc_lo, -1, v11
	v_cmp_gt_i32_e64 s2, s13, v11
	s_and_b32 s2, vcc_lo, s2
	s_and_saveexec_b32 s21, s2
	s_cbranch_execz .LBB23_9
; %bb.11:                               ;   in Loop: Header=BB23_10 Depth=1
	v_cmp_le_i32_e64 s25, v4, v8
	v_dual_ashrrev_i32 v5, 31, v4 :: v_dual_mov_b32 v9, 4
	s_mov_b32 s22, exec_lo
	s_mov_b32 s3, s25
	v_cmpx_gt_i32_e64 v4, v8
	s_cbranch_execz .LBB23_13
; %bb.12:                               ;   in Loop: Header=BB23_10 Depth=1
	v_lshl_add_u64 v[0:1], v[4:5], 2, s[6:7]
	v_mov_b32_e32 v9, 5
	global_load_b64 v[0:1], v[0:1], off offset:-4
	s_wait_loadcnt 0x0
	v_subrev_nc_u32_e32 v2, s8, v0
	v_cmp_ne_u32_e64 s3, v1, v0
	s_delay_alu instid0(VALU_DEP_2) | instskip(SKIP_2) | instid1(SALU_CYCLE_1)
	v_cmp_lt_i32_e32 vcc_lo, -1, v2
	v_cmp_gt_i32_e64 s2, s13, v2
	s_and_b32 s2, vcc_lo, s2
	s_xor_b32 s2, s2, -1
	s_delay_alu instid0(SALU_CYCLE_1) | instskip(SKIP_2) | instid1(SALU_CYCLE_1)
	s_or_b32 s2, s3, s2
	s_and_not1_b32 s3, s25, exec_lo
	s_and_b32 s2, s2, exec_lo
	s_or_b32 s3, s3, s2
.LBB23_13:                              ;   in Loop: Header=BB23_10 Depth=1
	s_or_b32 exec_lo, exec_lo, s22
	s_mov_b32 s2, -1
	s_mov_b32 s23, -1
	s_and_saveexec_b32 s22, s3
	s_cbranch_execz .LBB23_8
; %bb.14:                               ;   in Loop: Header=BB23_10 Depth=1
	v_lshl_add_u64 v[0:1], v[4:5], 4, s[14:15]
	v_mov_b32_e32 v9, 1
	s_mov_b32 s3, -1
	s_mov_b32 s24, -1
	global_load_b128 v[0:3], v[0:1], off
	s_wait_loadcnt 0x0
	v_cmp_neq_f64_e32 vcc_lo, 0x7ff00000, v[0:1]
	v_cmp_neq_f64_e64 s2, 0x7ff00000, v[2:3]
	s_and_b32 s2, vcc_lo, s2
	s_delay_alu instid0(SALU_CYCLE_1)
	s_and_saveexec_b32 s23, s2
	s_cbranch_execz .LBB23_7
; %bb.15:                               ;   in Loop: Header=BB23_10 Depth=1
	v_mov_b32_e32 v9, 2
	s_mov_b32 s2, -1
	s_mov_b32 s24, exec_lo
	v_cmpx_o_f64_e32 v[0:1], v[2:3]
	s_cbranch_execz .LBB23_6
; %bb.16:                               ;   in Loop: Header=BB23_10 Depth=1
	s_and_b32 vcc_lo, exec_lo, s9
	s_cbranch_vccz .LBB23_19
; %bb.17:                               ;   in Loop: Header=BB23_10 Depth=1
	s_and_b32 vcc_lo, exec_lo, s10
	s_cbranch_vccz .LBB23_20
; %bb.18:                               ;   in Loop: Header=BB23_10 Depth=1
	v_cmp_le_i32_e32 vcc_lo, v6, v11
	s_mov_b32 s3, 7
	s_and_b32 s27, vcc_lo, exec_lo
	s_cbranch_execz .LBB23_21
	s_branch .LBB23_22
.LBB23_19:                              ;   in Loop: Header=BB23_10 Depth=1
	s_mov_b32 s3, 2
	s_mov_b32 s27, -1
	s_branch .LBB23_22
.LBB23_20:                              ;   in Loop: Header=BB23_10 Depth=1
	s_mov_b32 s27, 0
	s_mov_b32 s3, 2
.LBB23_21:                              ;   in Loop: Header=BB23_10 Depth=1
	v_cmp_ge_i32_e32 vcc_lo, v6, v11
	s_and_not1_b32 s26, s27, exec_lo
	s_mov_b32 s3, 7
	s_and_b32 s27, vcc_lo, exec_lo
	s_delay_alu instid0(SALU_CYCLE_1)
	s_or_b32 s27, s26, s27
.LBB23_22:                              ;   in Loop: Header=BB23_10 Depth=1
	v_mov_b32_e32 v9, s3
	s_mov_b32 s28, -1
	s_and_saveexec_b32 s26, s27
	s_cbranch_execz .LBB23_5
; %bb.23:                               ;   in Loop: Header=BB23_10 Depth=1
	v_mov_b32_e32 v9, s3
	s_nor_b32 s3, s17, s25
	s_mov_b32 s25, -1
	s_and_saveexec_b32 s27, s3
	s_cbranch_execz .LBB23_25
; %bb.24:                               ;   in Loop: Header=BB23_10 Depth=1
	v_lshl_add_u64 v[0:1], v[4:5], 2, s[4:5]
	v_mov_b32_e32 v9, 6
	global_load_b32 v0, v[0:1], off offset:-4
	s_wait_loadcnt 0x0
	v_subrev_nc_u32_e32 v1, s8, v0
	v_cmp_gt_i32_e64 s3, v10, v0
	s_delay_alu instid0(VALU_DEP_2) | instskip(SKIP_2) | instid1(SALU_CYCLE_1)
	v_cmp_lt_i32_e32 vcc_lo, -1, v1
	v_cmp_gt_i32_e64 s2, s13, v1
	s_and_b32 s2, vcc_lo, s2
	s_xor_b32 s2, s2, -1
	s_delay_alu instid0(SALU_CYCLE_1) | instskip(NEXT) | instid1(SALU_CYCLE_1)
	s_or_b32 s2, s3, s2
	s_or_not1_b32 s2, s2, exec_lo
.LBB23_25:                              ;   in Loop: Header=BB23_10 Depth=1
	s_or_b32 exec_lo, exec_lo, s27
	s_mov_b32 s3, -1
	s_and_saveexec_b32 s27, s2
	s_cbranch_execz .LBB23_4
; %bb.26:                               ;   in Loop: Header=BB23_10 Depth=1
	v_add_nc_u32_e32 v4, 4, v4
	s_xor_b32 s3, exec_lo, -1
	s_delay_alu instid0(VALU_DEP_1)
	v_cmp_ge_i32_e32 vcc_lo, v4, v7
	s_or_not1_b32 s25, vcc_lo, exec_lo
	s_branch .LBB23_4
.LBB23_27:
	s_or_b32 exec_lo, exec_lo, s11
	s_delay_alu instid0(SALU_CYCLE_1)
	s_and_b32 s2, s18, exec_lo
.LBB23_28:
	s_or_b32 exec_lo, exec_lo, s16
	s_delay_alu instid0(SALU_CYCLE_1)
	s_or_not1_b32 s2, s2, exec_lo
.LBB23_29:
	s_or_b32 exec_lo, exec_lo, s12
	s_delay_alu instid0(SALU_CYCLE_1)
	s_and_b32 exec_lo, exec_lo, s2
	s_cbranch_execz .LBB23_31
; %bb.30:
	s_load_b64 s[0:1], s[0:1], 0x40
	v_mov_b32_e32 v0, 0
	s_wait_kmcnt 0x0
	global_store_b32 v0, v9, s[0:1]
.LBB23_31:
	s_endpgm
	.section	.rodata,"a",@progbits
	.p2align	6, 0x0
	.amdhsa_kernel _ZN9rocsparseL23check_matrix_csr_deviceILj256ELj4E21rocsparse_complex_numIdEiiEEvT3_S3_T2_PKT1_PKS4_PKS3_SB_21rocsparse_index_base_22rocsparse_matrix_type_20rocsparse_fill_mode_23rocsparse_storage_mode_P22rocsparse_data_status_
		.amdhsa_group_segment_fixed_size 0
		.amdhsa_private_segment_fixed_size 0
		.amdhsa_kernarg_size 72
		.amdhsa_user_sgpr_count 2
		.amdhsa_user_sgpr_dispatch_ptr 0
		.amdhsa_user_sgpr_queue_ptr 0
		.amdhsa_user_sgpr_kernarg_segment_ptr 1
		.amdhsa_user_sgpr_dispatch_id 0
		.amdhsa_user_sgpr_kernarg_preload_length 0
		.amdhsa_user_sgpr_kernarg_preload_offset 0
		.amdhsa_user_sgpr_private_segment_size 0
		.amdhsa_wavefront_size32 1
		.amdhsa_uses_dynamic_stack 0
		.amdhsa_enable_private_segment 0
		.amdhsa_system_sgpr_workgroup_id_x 1
		.amdhsa_system_sgpr_workgroup_id_y 0
		.amdhsa_system_sgpr_workgroup_id_z 0
		.amdhsa_system_sgpr_workgroup_info 0
		.amdhsa_system_vgpr_workitem_id 0
		.amdhsa_next_free_vgpr 12
		.amdhsa_next_free_sgpr 29
		.amdhsa_named_barrier_count 0
		.amdhsa_reserve_vcc 1
		.amdhsa_float_round_mode_32 0
		.amdhsa_float_round_mode_16_64 0
		.amdhsa_float_denorm_mode_32 3
		.amdhsa_float_denorm_mode_16_64 3
		.amdhsa_fp16_overflow 0
		.amdhsa_memory_ordered 1
		.amdhsa_forward_progress 1
		.amdhsa_inst_pref_size 9
		.amdhsa_round_robin_scheduling 0
		.amdhsa_exception_fp_ieee_invalid_op 0
		.amdhsa_exception_fp_denorm_src 0
		.amdhsa_exception_fp_ieee_div_zero 0
		.amdhsa_exception_fp_ieee_overflow 0
		.amdhsa_exception_fp_ieee_underflow 0
		.amdhsa_exception_fp_ieee_inexact 0
		.amdhsa_exception_int_div_zero 0
	.end_amdhsa_kernel
	.section	.text._ZN9rocsparseL23check_matrix_csr_deviceILj256ELj4E21rocsparse_complex_numIdEiiEEvT3_S3_T2_PKT1_PKS4_PKS3_SB_21rocsparse_index_base_22rocsparse_matrix_type_20rocsparse_fill_mode_23rocsparse_storage_mode_P22rocsparse_data_status_,"axG",@progbits,_ZN9rocsparseL23check_matrix_csr_deviceILj256ELj4E21rocsparse_complex_numIdEiiEEvT3_S3_T2_PKT1_PKS4_PKS3_SB_21rocsparse_index_base_22rocsparse_matrix_type_20rocsparse_fill_mode_23rocsparse_storage_mode_P22rocsparse_data_status_,comdat
.Lfunc_end23:
	.size	_ZN9rocsparseL23check_matrix_csr_deviceILj256ELj4E21rocsparse_complex_numIdEiiEEvT3_S3_T2_PKT1_PKS4_PKS3_SB_21rocsparse_index_base_22rocsparse_matrix_type_20rocsparse_fill_mode_23rocsparse_storage_mode_P22rocsparse_data_status_, .Lfunc_end23-_ZN9rocsparseL23check_matrix_csr_deviceILj256ELj4E21rocsparse_complex_numIdEiiEEvT3_S3_T2_PKT1_PKS4_PKS3_SB_21rocsparse_index_base_22rocsparse_matrix_type_20rocsparse_fill_mode_23rocsparse_storage_mode_P22rocsparse_data_status_
                                        ; -- End function
	.set _ZN9rocsparseL23check_matrix_csr_deviceILj256ELj4E21rocsparse_complex_numIdEiiEEvT3_S3_T2_PKT1_PKS4_PKS3_SB_21rocsparse_index_base_22rocsparse_matrix_type_20rocsparse_fill_mode_23rocsparse_storage_mode_P22rocsparse_data_status_.num_vgpr, 12
	.set _ZN9rocsparseL23check_matrix_csr_deviceILj256ELj4E21rocsparse_complex_numIdEiiEEvT3_S3_T2_PKT1_PKS4_PKS3_SB_21rocsparse_index_base_22rocsparse_matrix_type_20rocsparse_fill_mode_23rocsparse_storage_mode_P22rocsparse_data_status_.num_agpr, 0
	.set _ZN9rocsparseL23check_matrix_csr_deviceILj256ELj4E21rocsparse_complex_numIdEiiEEvT3_S3_T2_PKT1_PKS4_PKS3_SB_21rocsparse_index_base_22rocsparse_matrix_type_20rocsparse_fill_mode_23rocsparse_storage_mode_P22rocsparse_data_status_.numbered_sgpr, 29
	.set _ZN9rocsparseL23check_matrix_csr_deviceILj256ELj4E21rocsparse_complex_numIdEiiEEvT3_S3_T2_PKT1_PKS4_PKS3_SB_21rocsparse_index_base_22rocsparse_matrix_type_20rocsparse_fill_mode_23rocsparse_storage_mode_P22rocsparse_data_status_.num_named_barrier, 0
	.set _ZN9rocsparseL23check_matrix_csr_deviceILj256ELj4E21rocsparse_complex_numIdEiiEEvT3_S3_T2_PKT1_PKS4_PKS3_SB_21rocsparse_index_base_22rocsparse_matrix_type_20rocsparse_fill_mode_23rocsparse_storage_mode_P22rocsparse_data_status_.private_seg_size, 0
	.set _ZN9rocsparseL23check_matrix_csr_deviceILj256ELj4E21rocsparse_complex_numIdEiiEEvT3_S3_T2_PKT1_PKS4_PKS3_SB_21rocsparse_index_base_22rocsparse_matrix_type_20rocsparse_fill_mode_23rocsparse_storage_mode_P22rocsparse_data_status_.uses_vcc, 1
	.set _ZN9rocsparseL23check_matrix_csr_deviceILj256ELj4E21rocsparse_complex_numIdEiiEEvT3_S3_T2_PKT1_PKS4_PKS3_SB_21rocsparse_index_base_22rocsparse_matrix_type_20rocsparse_fill_mode_23rocsparse_storage_mode_P22rocsparse_data_status_.uses_flat_scratch, 0
	.set _ZN9rocsparseL23check_matrix_csr_deviceILj256ELj4E21rocsparse_complex_numIdEiiEEvT3_S3_T2_PKT1_PKS4_PKS3_SB_21rocsparse_index_base_22rocsparse_matrix_type_20rocsparse_fill_mode_23rocsparse_storage_mode_P22rocsparse_data_status_.has_dyn_sized_stack, 0
	.set _ZN9rocsparseL23check_matrix_csr_deviceILj256ELj4E21rocsparse_complex_numIdEiiEEvT3_S3_T2_PKT1_PKS4_PKS3_SB_21rocsparse_index_base_22rocsparse_matrix_type_20rocsparse_fill_mode_23rocsparse_storage_mode_P22rocsparse_data_status_.has_recursion, 0
	.set _ZN9rocsparseL23check_matrix_csr_deviceILj256ELj4E21rocsparse_complex_numIdEiiEEvT3_S3_T2_PKT1_PKS4_PKS3_SB_21rocsparse_index_base_22rocsparse_matrix_type_20rocsparse_fill_mode_23rocsparse_storage_mode_P22rocsparse_data_status_.has_indirect_call, 0
	.section	.AMDGPU.csdata,"",@progbits
; Kernel info:
; codeLenInByte = 1032
; TotalNumSgprs: 31
; NumVgprs: 12
; ScratchSize: 0
; MemoryBound: 0
; FloatMode: 240
; IeeeMode: 1
; LDSByteSize: 0 bytes/workgroup (compile time only)
; SGPRBlocks: 0
; VGPRBlocks: 0
; NumSGPRsForWavesPerEU: 31
; NumVGPRsForWavesPerEU: 12
; NamedBarCnt: 0
; Occupancy: 16
; WaveLimiterHint : 0
; COMPUTE_PGM_RSRC2:SCRATCH_EN: 0
; COMPUTE_PGM_RSRC2:USER_SGPR: 2
; COMPUTE_PGM_RSRC2:TRAP_HANDLER: 0
; COMPUTE_PGM_RSRC2:TGID_X_EN: 1
; COMPUTE_PGM_RSRC2:TGID_Y_EN: 0
; COMPUTE_PGM_RSRC2:TGID_Z_EN: 0
; COMPUTE_PGM_RSRC2:TIDIG_COMP_CNT: 0
	.section	.text._ZN9rocsparseL23check_matrix_csr_deviceILj256ELj8E21rocsparse_complex_numIdEiiEEvT3_S3_T2_PKT1_PKS4_PKS3_SB_21rocsparse_index_base_22rocsparse_matrix_type_20rocsparse_fill_mode_23rocsparse_storage_mode_P22rocsparse_data_status_,"axG",@progbits,_ZN9rocsparseL23check_matrix_csr_deviceILj256ELj8E21rocsparse_complex_numIdEiiEEvT3_S3_T2_PKT1_PKS4_PKS3_SB_21rocsparse_index_base_22rocsparse_matrix_type_20rocsparse_fill_mode_23rocsparse_storage_mode_P22rocsparse_data_status_,comdat
	.globl	_ZN9rocsparseL23check_matrix_csr_deviceILj256ELj8E21rocsparse_complex_numIdEiiEEvT3_S3_T2_PKT1_PKS4_PKS3_SB_21rocsparse_index_base_22rocsparse_matrix_type_20rocsparse_fill_mode_23rocsparse_storage_mode_P22rocsparse_data_status_ ; -- Begin function _ZN9rocsparseL23check_matrix_csr_deviceILj256ELj8E21rocsparse_complex_numIdEiiEEvT3_S3_T2_PKT1_PKS4_PKS3_SB_21rocsparse_index_base_22rocsparse_matrix_type_20rocsparse_fill_mode_23rocsparse_storage_mode_P22rocsparse_data_status_
	.p2align	8
	.type	_ZN9rocsparseL23check_matrix_csr_deviceILj256ELj8E21rocsparse_complex_numIdEiiEEvT3_S3_T2_PKT1_PKS4_PKS3_SB_21rocsparse_index_base_22rocsparse_matrix_type_20rocsparse_fill_mode_23rocsparse_storage_mode_P22rocsparse_data_status_,@function
_ZN9rocsparseL23check_matrix_csr_deviceILj256ELj8E21rocsparse_complex_numIdEiiEEvT3_S3_T2_PKT1_PKS4_PKS3_SB_21rocsparse_index_base_22rocsparse_matrix_type_20rocsparse_fill_mode_23rocsparse_storage_mode_P22rocsparse_data_status_: ; @_ZN9rocsparseL23check_matrix_csr_deviceILj256ELj8E21rocsparse_complex_numIdEiiEEvT3_S3_T2_PKT1_PKS4_PKS3_SB_21rocsparse_index_base_22rocsparse_matrix_type_20rocsparse_fill_mode_23rocsparse_storage_mode_P22rocsparse_data_status_
; %bb.0:
	s_bfe_u32 s2, ttmp6, 0x4000c
	s_load_b64 s[12:13], s[0:1], 0x0
	s_add_co_i32 s2, s2, 1
	s_and_b32 s3, ttmp6, 15
	s_mul_i32 s2, ttmp9, s2
	s_getreg_b32 s4, hwreg(HW_REG_IB_STS2, 6, 4)
	s_add_co_i32 s3, s3, s2
	s_cmp_eq_u32 s4, 0
	s_cselect_b32 s2, ttmp9, s3
	s_delay_alu instid0(SALU_CYCLE_1) | instskip(SKIP_1) | instid1(VALU_DEP_1)
	v_lshl_or_b32 v1, s2, 8, v0
	s_mov_b32 s2, exec_lo
	v_lshrrev_b32_e32 v6, 3, v1
	s_wait_kmcnt 0x0
	s_delay_alu instid0(VALU_DEP_1)
	v_cmpx_gt_i32_e64 s12, v6
	s_cbranch_execz .LBB24_31
; %bb.1:
	s_load_b64 s[2:3], s[0:1], 0x18
	v_dual_lshlrev_b32 v1, 2, v6 :: v_dual_mov_b32 v9, 3
	s_wait_kmcnt 0x0
	global_load_b64 v[2:3], v1, s[2:3]
	s_wait_xcnt 0x0
	s_load_b32 s2, s[2:3], 0x0
	s_wait_loadcnt 0x0
	s_wait_kmcnt 0x0
	v_subrev_nc_u32_e32 v7, s2, v3
	v_subrev_nc_u32_e32 v8, s2, v2
	v_cmp_lt_i32_e64 s2, v3, v2
	s_delay_alu instid0(VALU_DEP_3) | instskip(NEXT) | instid1(VALU_DEP_3)
	v_cmp_gt_i32_e32 vcc_lo, 0, v7
	v_cmp_lt_i32_e64 s3, -1, v8
	s_or_b32 s2, vcc_lo, s2
	s_delay_alu instid0(SALU_CYCLE_1) | instskip(SKIP_2) | instid1(SALU_CYCLE_1)
	s_xor_b32 s4, s2, -1
	s_mov_b32 s2, -1
	s_and_b32 s3, s3, s4
	s_and_saveexec_b32 s12, s3
	s_cbranch_execz .LBB24_29
; %bb.2:
	v_dual_mov_b32 v9, 3 :: v_dual_bitop2_b32 v0, 7, v0 bitop3:0x40
	s_mov_b32 s2, 0
	s_mov_b32 s16, exec_lo
	s_delay_alu instid0(VALU_DEP_1) | instskip(NEXT) | instid1(VALU_DEP_1)
	v_add_nc_u32_e32 v4, v8, v0
	v_cmpx_lt_u32_e64 v4, v7
	s_cbranch_execz .LBB24_28
; %bb.3:
	s_clause 0x1
	s_load_b256 s[4:11], s[0:1], 0x20
	s_load_b64 s[14:15], s[0:1], 0x10
                                        ; implicit-def: $sgpr18
                                        ; implicit-def: $sgpr19
                                        ; implicit-def: $sgpr20
	s_wait_kmcnt 0x0
	s_cmp_lg_u32 s9, 0
	s_cselect_b32 s9, -1, 0
	s_cmp_lg_u32 s10, 0
	s_cselect_b32 s10, -1, 0
	s_cmp_lg_u32 s11, 0
	s_mov_b32 s11, 0
	s_cselect_b32 s17, -1, 0
	s_branch .LBB24_10
.LBB24_4:                               ;   in Loop: Header=BB24_10 Depth=1
	s_or_b32 exec_lo, exec_lo, s27
	s_delay_alu instid0(SALU_CYCLE_1)
	s_or_not1_b32 s28, s3, exec_lo
	s_or_not1_b32 s2, s25, exec_lo
.LBB24_5:                               ;   in Loop: Header=BB24_10 Depth=1
	s_or_b32 exec_lo, exec_lo, s26
	s_delay_alu instid0(SALU_CYCLE_1)
	s_or_not1_b32 s3, s28, exec_lo
	s_or_not1_b32 s2, s2, exec_lo
.LBB24_6:                               ;   in Loop: Header=BB24_10 Depth=1
	s_or_b32 exec_lo, exec_lo, s24
	s_delay_alu instid0(SALU_CYCLE_1)
	s_or_not1_b32 s24, s3, exec_lo
	s_or_not1_b32 s3, s2, exec_lo
.LBB24_7:                               ;   in Loop: Header=BB24_10 Depth=1
	s_or_b32 exec_lo, exec_lo, s23
	s_delay_alu instid0(SALU_CYCLE_1)
	s_or_not1_b32 s23, s24, exec_lo
	s_or_not1_b32 s2, s3, exec_lo
.LBB24_8:                               ;   in Loop: Header=BB24_10 Depth=1
	s_or_b32 exec_lo, exec_lo, s22
	s_delay_alu instid0(SALU_CYCLE_1)
	s_and_not1_b32 s3, s20, exec_lo
	s_and_b32 s20, s23, exec_lo
	s_and_not1_b32 s19, s19, exec_lo
	s_and_b32 s2, s2, exec_lo
	s_or_b32 s20, s3, s20
	s_or_b32 s19, s19, s2
.LBB24_9:                               ;   in Loop: Header=BB24_10 Depth=1
	s_or_b32 exec_lo, exec_lo, s21
	s_delay_alu instid0(SALU_CYCLE_1) | instskip(NEXT) | instid1(SALU_CYCLE_1)
	s_and_b32 s2, exec_lo, s19
	s_or_b32 s11, s2, s11
	s_and_not1_b32 s2, s18, exec_lo
	s_and_b32 s3, s20, exec_lo
	s_delay_alu instid0(SALU_CYCLE_1)
	s_or_b32 s18, s2, s3
	s_and_not1_b32 exec_lo, exec_lo, s11
	s_cbranch_execz .LBB24_27
.LBB24_10:                              ; =>This Inner Loop Header: Depth=1
	global_load_b32 v10, v4, s[4:5] scale_offset
	v_mov_b32_e32 v9, 4
	s_or_b32 s20, s20, exec_lo
	s_or_b32 s19, s19, exec_lo
	s_wait_loadcnt 0x0
	v_subrev_nc_u32_e32 v11, s8, v10
	s_delay_alu instid0(VALU_DEP_1) | instskip(SKIP_2) | instid1(SALU_CYCLE_1)
	v_cmp_lt_i32_e32 vcc_lo, -1, v11
	v_cmp_gt_i32_e64 s2, s13, v11
	s_and_b32 s2, vcc_lo, s2
	s_and_saveexec_b32 s21, s2
	s_cbranch_execz .LBB24_9
; %bb.11:                               ;   in Loop: Header=BB24_10 Depth=1
	v_cmp_le_i32_e64 s25, v4, v8
	v_dual_ashrrev_i32 v5, 31, v4 :: v_dual_mov_b32 v9, 4
	s_mov_b32 s22, exec_lo
	s_mov_b32 s3, s25
	v_cmpx_gt_i32_e64 v4, v8
	s_cbranch_execz .LBB24_13
; %bb.12:                               ;   in Loop: Header=BB24_10 Depth=1
	v_lshl_add_u64 v[0:1], v[4:5], 2, s[6:7]
	v_mov_b32_e32 v9, 5
	global_load_b64 v[0:1], v[0:1], off offset:-4
	s_wait_loadcnt 0x0
	v_subrev_nc_u32_e32 v2, s8, v0
	v_cmp_ne_u32_e64 s3, v1, v0
	s_delay_alu instid0(VALU_DEP_2) | instskip(SKIP_2) | instid1(SALU_CYCLE_1)
	v_cmp_lt_i32_e32 vcc_lo, -1, v2
	v_cmp_gt_i32_e64 s2, s13, v2
	s_and_b32 s2, vcc_lo, s2
	s_xor_b32 s2, s2, -1
	s_delay_alu instid0(SALU_CYCLE_1) | instskip(SKIP_2) | instid1(SALU_CYCLE_1)
	s_or_b32 s2, s3, s2
	s_and_not1_b32 s3, s25, exec_lo
	s_and_b32 s2, s2, exec_lo
	s_or_b32 s3, s3, s2
.LBB24_13:                              ;   in Loop: Header=BB24_10 Depth=1
	s_or_b32 exec_lo, exec_lo, s22
	s_mov_b32 s2, -1
	s_mov_b32 s23, -1
	s_and_saveexec_b32 s22, s3
	s_cbranch_execz .LBB24_8
; %bb.14:                               ;   in Loop: Header=BB24_10 Depth=1
	v_lshl_add_u64 v[0:1], v[4:5], 4, s[14:15]
	v_mov_b32_e32 v9, 1
	s_mov_b32 s3, -1
	s_mov_b32 s24, -1
	global_load_b128 v[0:3], v[0:1], off
	s_wait_loadcnt 0x0
	v_cmp_neq_f64_e32 vcc_lo, 0x7ff00000, v[0:1]
	v_cmp_neq_f64_e64 s2, 0x7ff00000, v[2:3]
	s_and_b32 s2, vcc_lo, s2
	s_delay_alu instid0(SALU_CYCLE_1)
	s_and_saveexec_b32 s23, s2
	s_cbranch_execz .LBB24_7
; %bb.15:                               ;   in Loop: Header=BB24_10 Depth=1
	v_mov_b32_e32 v9, 2
	s_mov_b32 s2, -1
	s_mov_b32 s24, exec_lo
	v_cmpx_o_f64_e32 v[0:1], v[2:3]
	s_cbranch_execz .LBB24_6
; %bb.16:                               ;   in Loop: Header=BB24_10 Depth=1
	s_and_b32 vcc_lo, exec_lo, s9
	s_cbranch_vccz .LBB24_19
; %bb.17:                               ;   in Loop: Header=BB24_10 Depth=1
	s_and_b32 vcc_lo, exec_lo, s10
	s_cbranch_vccz .LBB24_20
; %bb.18:                               ;   in Loop: Header=BB24_10 Depth=1
	v_cmp_le_i32_e32 vcc_lo, v6, v11
	s_mov_b32 s3, 7
	s_and_b32 s27, vcc_lo, exec_lo
	s_cbranch_execz .LBB24_21
	s_branch .LBB24_22
.LBB24_19:                              ;   in Loop: Header=BB24_10 Depth=1
	s_mov_b32 s3, 2
	s_mov_b32 s27, -1
	s_branch .LBB24_22
.LBB24_20:                              ;   in Loop: Header=BB24_10 Depth=1
	s_mov_b32 s27, 0
	s_mov_b32 s3, 2
.LBB24_21:                              ;   in Loop: Header=BB24_10 Depth=1
	v_cmp_ge_i32_e32 vcc_lo, v6, v11
	s_and_not1_b32 s26, s27, exec_lo
	s_mov_b32 s3, 7
	s_and_b32 s27, vcc_lo, exec_lo
	s_delay_alu instid0(SALU_CYCLE_1)
	s_or_b32 s27, s26, s27
.LBB24_22:                              ;   in Loop: Header=BB24_10 Depth=1
	v_mov_b32_e32 v9, s3
	s_mov_b32 s28, -1
	s_and_saveexec_b32 s26, s27
	s_cbranch_execz .LBB24_5
; %bb.23:                               ;   in Loop: Header=BB24_10 Depth=1
	v_mov_b32_e32 v9, s3
	s_nor_b32 s3, s17, s25
	s_mov_b32 s25, -1
	s_and_saveexec_b32 s27, s3
	s_cbranch_execz .LBB24_25
; %bb.24:                               ;   in Loop: Header=BB24_10 Depth=1
	v_lshl_add_u64 v[0:1], v[4:5], 2, s[4:5]
	v_mov_b32_e32 v9, 6
	global_load_b32 v0, v[0:1], off offset:-4
	s_wait_loadcnt 0x0
	v_subrev_nc_u32_e32 v1, s8, v0
	v_cmp_gt_i32_e64 s3, v10, v0
	s_delay_alu instid0(VALU_DEP_2) | instskip(SKIP_2) | instid1(SALU_CYCLE_1)
	v_cmp_lt_i32_e32 vcc_lo, -1, v1
	v_cmp_gt_i32_e64 s2, s13, v1
	s_and_b32 s2, vcc_lo, s2
	s_xor_b32 s2, s2, -1
	s_delay_alu instid0(SALU_CYCLE_1) | instskip(NEXT) | instid1(SALU_CYCLE_1)
	s_or_b32 s2, s3, s2
	s_or_not1_b32 s2, s2, exec_lo
.LBB24_25:                              ;   in Loop: Header=BB24_10 Depth=1
	s_or_b32 exec_lo, exec_lo, s27
	s_mov_b32 s3, -1
	s_and_saveexec_b32 s27, s2
	s_cbranch_execz .LBB24_4
; %bb.26:                               ;   in Loop: Header=BB24_10 Depth=1
	v_add_nc_u32_e32 v4, 8, v4
	s_xor_b32 s3, exec_lo, -1
	s_delay_alu instid0(VALU_DEP_1)
	v_cmp_ge_i32_e32 vcc_lo, v4, v7
	s_or_not1_b32 s25, vcc_lo, exec_lo
	s_branch .LBB24_4
.LBB24_27:
	s_or_b32 exec_lo, exec_lo, s11
	s_delay_alu instid0(SALU_CYCLE_1)
	s_and_b32 s2, s18, exec_lo
.LBB24_28:
	s_or_b32 exec_lo, exec_lo, s16
	s_delay_alu instid0(SALU_CYCLE_1)
	s_or_not1_b32 s2, s2, exec_lo
.LBB24_29:
	s_or_b32 exec_lo, exec_lo, s12
	s_delay_alu instid0(SALU_CYCLE_1)
	s_and_b32 exec_lo, exec_lo, s2
	s_cbranch_execz .LBB24_31
; %bb.30:
	s_load_b64 s[0:1], s[0:1], 0x40
	v_mov_b32_e32 v0, 0
	s_wait_kmcnt 0x0
	global_store_b32 v0, v9, s[0:1]
.LBB24_31:
	s_endpgm
	.section	.rodata,"a",@progbits
	.p2align	6, 0x0
	.amdhsa_kernel _ZN9rocsparseL23check_matrix_csr_deviceILj256ELj8E21rocsparse_complex_numIdEiiEEvT3_S3_T2_PKT1_PKS4_PKS3_SB_21rocsparse_index_base_22rocsparse_matrix_type_20rocsparse_fill_mode_23rocsparse_storage_mode_P22rocsparse_data_status_
		.amdhsa_group_segment_fixed_size 0
		.amdhsa_private_segment_fixed_size 0
		.amdhsa_kernarg_size 72
		.amdhsa_user_sgpr_count 2
		.amdhsa_user_sgpr_dispatch_ptr 0
		.amdhsa_user_sgpr_queue_ptr 0
		.amdhsa_user_sgpr_kernarg_segment_ptr 1
		.amdhsa_user_sgpr_dispatch_id 0
		.amdhsa_user_sgpr_kernarg_preload_length 0
		.amdhsa_user_sgpr_kernarg_preload_offset 0
		.amdhsa_user_sgpr_private_segment_size 0
		.amdhsa_wavefront_size32 1
		.amdhsa_uses_dynamic_stack 0
		.amdhsa_enable_private_segment 0
		.amdhsa_system_sgpr_workgroup_id_x 1
		.amdhsa_system_sgpr_workgroup_id_y 0
		.amdhsa_system_sgpr_workgroup_id_z 0
		.amdhsa_system_sgpr_workgroup_info 0
		.amdhsa_system_vgpr_workitem_id 0
		.amdhsa_next_free_vgpr 12
		.amdhsa_next_free_sgpr 29
		.amdhsa_named_barrier_count 0
		.amdhsa_reserve_vcc 1
		.amdhsa_float_round_mode_32 0
		.amdhsa_float_round_mode_16_64 0
		.amdhsa_float_denorm_mode_32 3
		.amdhsa_float_denorm_mode_16_64 3
		.amdhsa_fp16_overflow 0
		.amdhsa_memory_ordered 1
		.amdhsa_forward_progress 1
		.amdhsa_inst_pref_size 9
		.amdhsa_round_robin_scheduling 0
		.amdhsa_exception_fp_ieee_invalid_op 0
		.amdhsa_exception_fp_denorm_src 0
		.amdhsa_exception_fp_ieee_div_zero 0
		.amdhsa_exception_fp_ieee_overflow 0
		.amdhsa_exception_fp_ieee_underflow 0
		.amdhsa_exception_fp_ieee_inexact 0
		.amdhsa_exception_int_div_zero 0
	.end_amdhsa_kernel
	.section	.text._ZN9rocsparseL23check_matrix_csr_deviceILj256ELj8E21rocsparse_complex_numIdEiiEEvT3_S3_T2_PKT1_PKS4_PKS3_SB_21rocsparse_index_base_22rocsparse_matrix_type_20rocsparse_fill_mode_23rocsparse_storage_mode_P22rocsparse_data_status_,"axG",@progbits,_ZN9rocsparseL23check_matrix_csr_deviceILj256ELj8E21rocsparse_complex_numIdEiiEEvT3_S3_T2_PKT1_PKS4_PKS3_SB_21rocsparse_index_base_22rocsparse_matrix_type_20rocsparse_fill_mode_23rocsparse_storage_mode_P22rocsparse_data_status_,comdat
.Lfunc_end24:
	.size	_ZN9rocsparseL23check_matrix_csr_deviceILj256ELj8E21rocsparse_complex_numIdEiiEEvT3_S3_T2_PKT1_PKS4_PKS3_SB_21rocsparse_index_base_22rocsparse_matrix_type_20rocsparse_fill_mode_23rocsparse_storage_mode_P22rocsparse_data_status_, .Lfunc_end24-_ZN9rocsparseL23check_matrix_csr_deviceILj256ELj8E21rocsparse_complex_numIdEiiEEvT3_S3_T2_PKT1_PKS4_PKS3_SB_21rocsparse_index_base_22rocsparse_matrix_type_20rocsparse_fill_mode_23rocsparse_storage_mode_P22rocsparse_data_status_
                                        ; -- End function
	.set _ZN9rocsparseL23check_matrix_csr_deviceILj256ELj8E21rocsparse_complex_numIdEiiEEvT3_S3_T2_PKT1_PKS4_PKS3_SB_21rocsparse_index_base_22rocsparse_matrix_type_20rocsparse_fill_mode_23rocsparse_storage_mode_P22rocsparse_data_status_.num_vgpr, 12
	.set _ZN9rocsparseL23check_matrix_csr_deviceILj256ELj8E21rocsparse_complex_numIdEiiEEvT3_S3_T2_PKT1_PKS4_PKS3_SB_21rocsparse_index_base_22rocsparse_matrix_type_20rocsparse_fill_mode_23rocsparse_storage_mode_P22rocsparse_data_status_.num_agpr, 0
	.set _ZN9rocsparseL23check_matrix_csr_deviceILj256ELj8E21rocsparse_complex_numIdEiiEEvT3_S3_T2_PKT1_PKS4_PKS3_SB_21rocsparse_index_base_22rocsparse_matrix_type_20rocsparse_fill_mode_23rocsparse_storage_mode_P22rocsparse_data_status_.numbered_sgpr, 29
	.set _ZN9rocsparseL23check_matrix_csr_deviceILj256ELj8E21rocsparse_complex_numIdEiiEEvT3_S3_T2_PKT1_PKS4_PKS3_SB_21rocsparse_index_base_22rocsparse_matrix_type_20rocsparse_fill_mode_23rocsparse_storage_mode_P22rocsparse_data_status_.num_named_barrier, 0
	.set _ZN9rocsparseL23check_matrix_csr_deviceILj256ELj8E21rocsparse_complex_numIdEiiEEvT3_S3_T2_PKT1_PKS4_PKS3_SB_21rocsparse_index_base_22rocsparse_matrix_type_20rocsparse_fill_mode_23rocsparse_storage_mode_P22rocsparse_data_status_.private_seg_size, 0
	.set _ZN9rocsparseL23check_matrix_csr_deviceILj256ELj8E21rocsparse_complex_numIdEiiEEvT3_S3_T2_PKT1_PKS4_PKS3_SB_21rocsparse_index_base_22rocsparse_matrix_type_20rocsparse_fill_mode_23rocsparse_storage_mode_P22rocsparse_data_status_.uses_vcc, 1
	.set _ZN9rocsparseL23check_matrix_csr_deviceILj256ELj8E21rocsparse_complex_numIdEiiEEvT3_S3_T2_PKT1_PKS4_PKS3_SB_21rocsparse_index_base_22rocsparse_matrix_type_20rocsparse_fill_mode_23rocsparse_storage_mode_P22rocsparse_data_status_.uses_flat_scratch, 0
	.set _ZN9rocsparseL23check_matrix_csr_deviceILj256ELj8E21rocsparse_complex_numIdEiiEEvT3_S3_T2_PKT1_PKS4_PKS3_SB_21rocsparse_index_base_22rocsparse_matrix_type_20rocsparse_fill_mode_23rocsparse_storage_mode_P22rocsparse_data_status_.has_dyn_sized_stack, 0
	.set _ZN9rocsparseL23check_matrix_csr_deviceILj256ELj8E21rocsparse_complex_numIdEiiEEvT3_S3_T2_PKT1_PKS4_PKS3_SB_21rocsparse_index_base_22rocsparse_matrix_type_20rocsparse_fill_mode_23rocsparse_storage_mode_P22rocsparse_data_status_.has_recursion, 0
	.set _ZN9rocsparseL23check_matrix_csr_deviceILj256ELj8E21rocsparse_complex_numIdEiiEEvT3_S3_T2_PKT1_PKS4_PKS3_SB_21rocsparse_index_base_22rocsparse_matrix_type_20rocsparse_fill_mode_23rocsparse_storage_mode_P22rocsparse_data_status_.has_indirect_call, 0
	.section	.AMDGPU.csdata,"",@progbits
; Kernel info:
; codeLenInByte = 1032
; TotalNumSgprs: 31
; NumVgprs: 12
; ScratchSize: 0
; MemoryBound: 0
; FloatMode: 240
; IeeeMode: 1
; LDSByteSize: 0 bytes/workgroup (compile time only)
; SGPRBlocks: 0
; VGPRBlocks: 0
; NumSGPRsForWavesPerEU: 31
; NumVGPRsForWavesPerEU: 12
; NamedBarCnt: 0
; Occupancy: 16
; WaveLimiterHint : 0
; COMPUTE_PGM_RSRC2:SCRATCH_EN: 0
; COMPUTE_PGM_RSRC2:USER_SGPR: 2
; COMPUTE_PGM_RSRC2:TRAP_HANDLER: 0
; COMPUTE_PGM_RSRC2:TGID_X_EN: 1
; COMPUTE_PGM_RSRC2:TGID_Y_EN: 0
; COMPUTE_PGM_RSRC2:TGID_Z_EN: 0
; COMPUTE_PGM_RSRC2:TIDIG_COMP_CNT: 0
	.section	.text._ZN9rocsparseL23check_matrix_csr_deviceILj256ELj16E21rocsparse_complex_numIdEiiEEvT3_S3_T2_PKT1_PKS4_PKS3_SB_21rocsparse_index_base_22rocsparse_matrix_type_20rocsparse_fill_mode_23rocsparse_storage_mode_P22rocsparse_data_status_,"axG",@progbits,_ZN9rocsparseL23check_matrix_csr_deviceILj256ELj16E21rocsparse_complex_numIdEiiEEvT3_S3_T2_PKT1_PKS4_PKS3_SB_21rocsparse_index_base_22rocsparse_matrix_type_20rocsparse_fill_mode_23rocsparse_storage_mode_P22rocsparse_data_status_,comdat
	.globl	_ZN9rocsparseL23check_matrix_csr_deviceILj256ELj16E21rocsparse_complex_numIdEiiEEvT3_S3_T2_PKT1_PKS4_PKS3_SB_21rocsparse_index_base_22rocsparse_matrix_type_20rocsparse_fill_mode_23rocsparse_storage_mode_P22rocsparse_data_status_ ; -- Begin function _ZN9rocsparseL23check_matrix_csr_deviceILj256ELj16E21rocsparse_complex_numIdEiiEEvT3_S3_T2_PKT1_PKS4_PKS3_SB_21rocsparse_index_base_22rocsparse_matrix_type_20rocsparse_fill_mode_23rocsparse_storage_mode_P22rocsparse_data_status_
	.p2align	8
	.type	_ZN9rocsparseL23check_matrix_csr_deviceILj256ELj16E21rocsparse_complex_numIdEiiEEvT3_S3_T2_PKT1_PKS4_PKS3_SB_21rocsparse_index_base_22rocsparse_matrix_type_20rocsparse_fill_mode_23rocsparse_storage_mode_P22rocsparse_data_status_,@function
_ZN9rocsparseL23check_matrix_csr_deviceILj256ELj16E21rocsparse_complex_numIdEiiEEvT3_S3_T2_PKT1_PKS4_PKS3_SB_21rocsparse_index_base_22rocsparse_matrix_type_20rocsparse_fill_mode_23rocsparse_storage_mode_P22rocsparse_data_status_: ; @_ZN9rocsparseL23check_matrix_csr_deviceILj256ELj16E21rocsparse_complex_numIdEiiEEvT3_S3_T2_PKT1_PKS4_PKS3_SB_21rocsparse_index_base_22rocsparse_matrix_type_20rocsparse_fill_mode_23rocsparse_storage_mode_P22rocsparse_data_status_
; %bb.0:
	s_bfe_u32 s2, ttmp6, 0x4000c
	s_load_b64 s[12:13], s[0:1], 0x0
	s_add_co_i32 s2, s2, 1
	s_and_b32 s3, ttmp6, 15
	s_mul_i32 s2, ttmp9, s2
	s_getreg_b32 s4, hwreg(HW_REG_IB_STS2, 6, 4)
	s_add_co_i32 s3, s3, s2
	s_cmp_eq_u32 s4, 0
	s_cselect_b32 s2, ttmp9, s3
	s_delay_alu instid0(SALU_CYCLE_1) | instskip(SKIP_1) | instid1(VALU_DEP_1)
	v_lshl_or_b32 v1, s2, 8, v0
	s_mov_b32 s2, exec_lo
	v_lshrrev_b32_e32 v6, 4, v1
	s_wait_kmcnt 0x0
	s_delay_alu instid0(VALU_DEP_1)
	v_cmpx_gt_i32_e64 s12, v6
	s_cbranch_execz .LBB25_31
; %bb.1:
	s_load_b64 s[2:3], s[0:1], 0x18
	v_dual_lshlrev_b32 v1, 2, v6 :: v_dual_mov_b32 v9, 3
	s_wait_kmcnt 0x0
	global_load_b64 v[2:3], v1, s[2:3]
	s_wait_xcnt 0x0
	s_load_b32 s2, s[2:3], 0x0
	s_wait_loadcnt 0x0
	s_wait_kmcnt 0x0
	v_subrev_nc_u32_e32 v7, s2, v3
	v_subrev_nc_u32_e32 v8, s2, v2
	v_cmp_lt_i32_e64 s2, v3, v2
	s_delay_alu instid0(VALU_DEP_3) | instskip(NEXT) | instid1(VALU_DEP_3)
	v_cmp_gt_i32_e32 vcc_lo, 0, v7
	v_cmp_lt_i32_e64 s3, -1, v8
	s_or_b32 s2, vcc_lo, s2
	s_delay_alu instid0(SALU_CYCLE_1) | instskip(SKIP_2) | instid1(SALU_CYCLE_1)
	s_xor_b32 s4, s2, -1
	s_mov_b32 s2, -1
	s_and_b32 s3, s3, s4
	s_and_saveexec_b32 s12, s3
	s_cbranch_execz .LBB25_29
; %bb.2:
	v_dual_mov_b32 v9, 3 :: v_dual_bitop2_b32 v0, 15, v0 bitop3:0x40
	s_mov_b32 s2, 0
	s_mov_b32 s16, exec_lo
	s_delay_alu instid0(VALU_DEP_1) | instskip(NEXT) | instid1(VALU_DEP_1)
	v_add_nc_u32_e32 v4, v8, v0
	v_cmpx_lt_u32_e64 v4, v7
	s_cbranch_execz .LBB25_28
; %bb.3:
	s_clause 0x1
	s_load_b256 s[4:11], s[0:1], 0x20
	s_load_b64 s[14:15], s[0:1], 0x10
                                        ; implicit-def: $sgpr18
                                        ; implicit-def: $sgpr19
                                        ; implicit-def: $sgpr20
	s_wait_kmcnt 0x0
	s_cmp_lg_u32 s9, 0
	s_cselect_b32 s9, -1, 0
	s_cmp_lg_u32 s10, 0
	s_cselect_b32 s10, -1, 0
	s_cmp_lg_u32 s11, 0
	s_mov_b32 s11, 0
	s_cselect_b32 s17, -1, 0
	s_branch .LBB25_10
.LBB25_4:                               ;   in Loop: Header=BB25_10 Depth=1
	s_or_b32 exec_lo, exec_lo, s27
	s_delay_alu instid0(SALU_CYCLE_1)
	s_or_not1_b32 s28, s3, exec_lo
	s_or_not1_b32 s2, s25, exec_lo
.LBB25_5:                               ;   in Loop: Header=BB25_10 Depth=1
	s_or_b32 exec_lo, exec_lo, s26
	s_delay_alu instid0(SALU_CYCLE_1)
	s_or_not1_b32 s3, s28, exec_lo
	s_or_not1_b32 s2, s2, exec_lo
.LBB25_6:                               ;   in Loop: Header=BB25_10 Depth=1
	s_or_b32 exec_lo, exec_lo, s24
	s_delay_alu instid0(SALU_CYCLE_1)
	s_or_not1_b32 s24, s3, exec_lo
	s_or_not1_b32 s3, s2, exec_lo
.LBB25_7:                               ;   in Loop: Header=BB25_10 Depth=1
	s_or_b32 exec_lo, exec_lo, s23
	s_delay_alu instid0(SALU_CYCLE_1)
	s_or_not1_b32 s23, s24, exec_lo
	s_or_not1_b32 s2, s3, exec_lo
.LBB25_8:                               ;   in Loop: Header=BB25_10 Depth=1
	s_or_b32 exec_lo, exec_lo, s22
	s_delay_alu instid0(SALU_CYCLE_1)
	s_and_not1_b32 s3, s20, exec_lo
	s_and_b32 s20, s23, exec_lo
	s_and_not1_b32 s19, s19, exec_lo
	s_and_b32 s2, s2, exec_lo
	s_or_b32 s20, s3, s20
	s_or_b32 s19, s19, s2
.LBB25_9:                               ;   in Loop: Header=BB25_10 Depth=1
	s_or_b32 exec_lo, exec_lo, s21
	s_delay_alu instid0(SALU_CYCLE_1) | instskip(NEXT) | instid1(SALU_CYCLE_1)
	s_and_b32 s2, exec_lo, s19
	s_or_b32 s11, s2, s11
	s_and_not1_b32 s2, s18, exec_lo
	s_and_b32 s3, s20, exec_lo
	s_delay_alu instid0(SALU_CYCLE_1)
	s_or_b32 s18, s2, s3
	s_and_not1_b32 exec_lo, exec_lo, s11
	s_cbranch_execz .LBB25_27
.LBB25_10:                              ; =>This Inner Loop Header: Depth=1
	global_load_b32 v10, v4, s[4:5] scale_offset
	v_mov_b32_e32 v9, 4
	s_or_b32 s20, s20, exec_lo
	s_or_b32 s19, s19, exec_lo
	s_wait_loadcnt 0x0
	v_subrev_nc_u32_e32 v11, s8, v10
	s_delay_alu instid0(VALU_DEP_1) | instskip(SKIP_2) | instid1(SALU_CYCLE_1)
	v_cmp_lt_i32_e32 vcc_lo, -1, v11
	v_cmp_gt_i32_e64 s2, s13, v11
	s_and_b32 s2, vcc_lo, s2
	s_and_saveexec_b32 s21, s2
	s_cbranch_execz .LBB25_9
; %bb.11:                               ;   in Loop: Header=BB25_10 Depth=1
	v_cmp_le_i32_e64 s25, v4, v8
	v_dual_ashrrev_i32 v5, 31, v4 :: v_dual_mov_b32 v9, 4
	s_mov_b32 s22, exec_lo
	s_mov_b32 s3, s25
	v_cmpx_gt_i32_e64 v4, v8
	s_cbranch_execz .LBB25_13
; %bb.12:                               ;   in Loop: Header=BB25_10 Depth=1
	v_lshl_add_u64 v[0:1], v[4:5], 2, s[6:7]
	v_mov_b32_e32 v9, 5
	global_load_b64 v[0:1], v[0:1], off offset:-4
	s_wait_loadcnt 0x0
	v_subrev_nc_u32_e32 v2, s8, v0
	v_cmp_ne_u32_e64 s3, v1, v0
	s_delay_alu instid0(VALU_DEP_2) | instskip(SKIP_2) | instid1(SALU_CYCLE_1)
	v_cmp_lt_i32_e32 vcc_lo, -1, v2
	v_cmp_gt_i32_e64 s2, s13, v2
	s_and_b32 s2, vcc_lo, s2
	s_xor_b32 s2, s2, -1
	s_delay_alu instid0(SALU_CYCLE_1) | instskip(SKIP_2) | instid1(SALU_CYCLE_1)
	s_or_b32 s2, s3, s2
	s_and_not1_b32 s3, s25, exec_lo
	s_and_b32 s2, s2, exec_lo
	s_or_b32 s3, s3, s2
.LBB25_13:                              ;   in Loop: Header=BB25_10 Depth=1
	s_or_b32 exec_lo, exec_lo, s22
	s_mov_b32 s2, -1
	s_mov_b32 s23, -1
	s_and_saveexec_b32 s22, s3
	s_cbranch_execz .LBB25_8
; %bb.14:                               ;   in Loop: Header=BB25_10 Depth=1
	v_lshl_add_u64 v[0:1], v[4:5], 4, s[14:15]
	v_mov_b32_e32 v9, 1
	s_mov_b32 s3, -1
	s_mov_b32 s24, -1
	global_load_b128 v[0:3], v[0:1], off
	s_wait_loadcnt 0x0
	v_cmp_neq_f64_e32 vcc_lo, 0x7ff00000, v[0:1]
	v_cmp_neq_f64_e64 s2, 0x7ff00000, v[2:3]
	s_and_b32 s2, vcc_lo, s2
	s_delay_alu instid0(SALU_CYCLE_1)
	s_and_saveexec_b32 s23, s2
	s_cbranch_execz .LBB25_7
; %bb.15:                               ;   in Loop: Header=BB25_10 Depth=1
	v_mov_b32_e32 v9, 2
	s_mov_b32 s2, -1
	s_mov_b32 s24, exec_lo
	v_cmpx_o_f64_e32 v[0:1], v[2:3]
	s_cbranch_execz .LBB25_6
; %bb.16:                               ;   in Loop: Header=BB25_10 Depth=1
	s_and_b32 vcc_lo, exec_lo, s9
	s_cbranch_vccz .LBB25_19
; %bb.17:                               ;   in Loop: Header=BB25_10 Depth=1
	s_and_b32 vcc_lo, exec_lo, s10
	s_cbranch_vccz .LBB25_20
; %bb.18:                               ;   in Loop: Header=BB25_10 Depth=1
	v_cmp_le_i32_e32 vcc_lo, v6, v11
	s_mov_b32 s3, 7
	s_and_b32 s27, vcc_lo, exec_lo
	s_cbranch_execz .LBB25_21
	s_branch .LBB25_22
.LBB25_19:                              ;   in Loop: Header=BB25_10 Depth=1
	s_mov_b32 s3, 2
	s_mov_b32 s27, -1
	s_branch .LBB25_22
.LBB25_20:                              ;   in Loop: Header=BB25_10 Depth=1
	s_mov_b32 s27, 0
	s_mov_b32 s3, 2
.LBB25_21:                              ;   in Loop: Header=BB25_10 Depth=1
	v_cmp_ge_i32_e32 vcc_lo, v6, v11
	s_and_not1_b32 s26, s27, exec_lo
	s_mov_b32 s3, 7
	s_and_b32 s27, vcc_lo, exec_lo
	s_delay_alu instid0(SALU_CYCLE_1)
	s_or_b32 s27, s26, s27
.LBB25_22:                              ;   in Loop: Header=BB25_10 Depth=1
	v_mov_b32_e32 v9, s3
	s_mov_b32 s28, -1
	s_and_saveexec_b32 s26, s27
	s_cbranch_execz .LBB25_5
; %bb.23:                               ;   in Loop: Header=BB25_10 Depth=1
	v_mov_b32_e32 v9, s3
	s_nor_b32 s3, s17, s25
	s_mov_b32 s25, -1
	s_and_saveexec_b32 s27, s3
	s_cbranch_execz .LBB25_25
; %bb.24:                               ;   in Loop: Header=BB25_10 Depth=1
	v_lshl_add_u64 v[0:1], v[4:5], 2, s[4:5]
	v_mov_b32_e32 v9, 6
	global_load_b32 v0, v[0:1], off offset:-4
	s_wait_loadcnt 0x0
	v_subrev_nc_u32_e32 v1, s8, v0
	v_cmp_gt_i32_e64 s3, v10, v0
	s_delay_alu instid0(VALU_DEP_2) | instskip(SKIP_2) | instid1(SALU_CYCLE_1)
	v_cmp_lt_i32_e32 vcc_lo, -1, v1
	v_cmp_gt_i32_e64 s2, s13, v1
	s_and_b32 s2, vcc_lo, s2
	s_xor_b32 s2, s2, -1
	s_delay_alu instid0(SALU_CYCLE_1) | instskip(NEXT) | instid1(SALU_CYCLE_1)
	s_or_b32 s2, s3, s2
	s_or_not1_b32 s2, s2, exec_lo
.LBB25_25:                              ;   in Loop: Header=BB25_10 Depth=1
	s_or_b32 exec_lo, exec_lo, s27
	s_mov_b32 s3, -1
	s_and_saveexec_b32 s27, s2
	s_cbranch_execz .LBB25_4
; %bb.26:                               ;   in Loop: Header=BB25_10 Depth=1
	v_add_nc_u32_e32 v4, 16, v4
	s_xor_b32 s3, exec_lo, -1
	s_delay_alu instid0(VALU_DEP_1)
	v_cmp_ge_i32_e32 vcc_lo, v4, v7
	s_or_not1_b32 s25, vcc_lo, exec_lo
	s_branch .LBB25_4
.LBB25_27:
	s_or_b32 exec_lo, exec_lo, s11
	s_delay_alu instid0(SALU_CYCLE_1)
	s_and_b32 s2, s18, exec_lo
.LBB25_28:
	s_or_b32 exec_lo, exec_lo, s16
	s_delay_alu instid0(SALU_CYCLE_1)
	s_or_not1_b32 s2, s2, exec_lo
.LBB25_29:
	s_or_b32 exec_lo, exec_lo, s12
	s_delay_alu instid0(SALU_CYCLE_1)
	s_and_b32 exec_lo, exec_lo, s2
	s_cbranch_execz .LBB25_31
; %bb.30:
	s_load_b64 s[0:1], s[0:1], 0x40
	v_mov_b32_e32 v0, 0
	s_wait_kmcnt 0x0
	global_store_b32 v0, v9, s[0:1]
.LBB25_31:
	s_endpgm
	.section	.rodata,"a",@progbits
	.p2align	6, 0x0
	.amdhsa_kernel _ZN9rocsparseL23check_matrix_csr_deviceILj256ELj16E21rocsparse_complex_numIdEiiEEvT3_S3_T2_PKT1_PKS4_PKS3_SB_21rocsparse_index_base_22rocsparse_matrix_type_20rocsparse_fill_mode_23rocsparse_storage_mode_P22rocsparse_data_status_
		.amdhsa_group_segment_fixed_size 0
		.amdhsa_private_segment_fixed_size 0
		.amdhsa_kernarg_size 72
		.amdhsa_user_sgpr_count 2
		.amdhsa_user_sgpr_dispatch_ptr 0
		.amdhsa_user_sgpr_queue_ptr 0
		.amdhsa_user_sgpr_kernarg_segment_ptr 1
		.amdhsa_user_sgpr_dispatch_id 0
		.amdhsa_user_sgpr_kernarg_preload_length 0
		.amdhsa_user_sgpr_kernarg_preload_offset 0
		.amdhsa_user_sgpr_private_segment_size 0
		.amdhsa_wavefront_size32 1
		.amdhsa_uses_dynamic_stack 0
		.amdhsa_enable_private_segment 0
		.amdhsa_system_sgpr_workgroup_id_x 1
		.amdhsa_system_sgpr_workgroup_id_y 0
		.amdhsa_system_sgpr_workgroup_id_z 0
		.amdhsa_system_sgpr_workgroup_info 0
		.amdhsa_system_vgpr_workitem_id 0
		.amdhsa_next_free_vgpr 12
		.amdhsa_next_free_sgpr 29
		.amdhsa_named_barrier_count 0
		.amdhsa_reserve_vcc 1
		.amdhsa_float_round_mode_32 0
		.amdhsa_float_round_mode_16_64 0
		.amdhsa_float_denorm_mode_32 3
		.amdhsa_float_denorm_mode_16_64 3
		.amdhsa_fp16_overflow 0
		.amdhsa_memory_ordered 1
		.amdhsa_forward_progress 1
		.amdhsa_inst_pref_size 9
		.amdhsa_round_robin_scheduling 0
		.amdhsa_exception_fp_ieee_invalid_op 0
		.amdhsa_exception_fp_denorm_src 0
		.amdhsa_exception_fp_ieee_div_zero 0
		.amdhsa_exception_fp_ieee_overflow 0
		.amdhsa_exception_fp_ieee_underflow 0
		.amdhsa_exception_fp_ieee_inexact 0
		.amdhsa_exception_int_div_zero 0
	.end_amdhsa_kernel
	.section	.text._ZN9rocsparseL23check_matrix_csr_deviceILj256ELj16E21rocsparse_complex_numIdEiiEEvT3_S3_T2_PKT1_PKS4_PKS3_SB_21rocsparse_index_base_22rocsparse_matrix_type_20rocsparse_fill_mode_23rocsparse_storage_mode_P22rocsparse_data_status_,"axG",@progbits,_ZN9rocsparseL23check_matrix_csr_deviceILj256ELj16E21rocsparse_complex_numIdEiiEEvT3_S3_T2_PKT1_PKS4_PKS3_SB_21rocsparse_index_base_22rocsparse_matrix_type_20rocsparse_fill_mode_23rocsparse_storage_mode_P22rocsparse_data_status_,comdat
.Lfunc_end25:
	.size	_ZN9rocsparseL23check_matrix_csr_deviceILj256ELj16E21rocsparse_complex_numIdEiiEEvT3_S3_T2_PKT1_PKS4_PKS3_SB_21rocsparse_index_base_22rocsparse_matrix_type_20rocsparse_fill_mode_23rocsparse_storage_mode_P22rocsparse_data_status_, .Lfunc_end25-_ZN9rocsparseL23check_matrix_csr_deviceILj256ELj16E21rocsparse_complex_numIdEiiEEvT3_S3_T2_PKT1_PKS4_PKS3_SB_21rocsparse_index_base_22rocsparse_matrix_type_20rocsparse_fill_mode_23rocsparse_storage_mode_P22rocsparse_data_status_
                                        ; -- End function
	.set _ZN9rocsparseL23check_matrix_csr_deviceILj256ELj16E21rocsparse_complex_numIdEiiEEvT3_S3_T2_PKT1_PKS4_PKS3_SB_21rocsparse_index_base_22rocsparse_matrix_type_20rocsparse_fill_mode_23rocsparse_storage_mode_P22rocsparse_data_status_.num_vgpr, 12
	.set _ZN9rocsparseL23check_matrix_csr_deviceILj256ELj16E21rocsparse_complex_numIdEiiEEvT3_S3_T2_PKT1_PKS4_PKS3_SB_21rocsparse_index_base_22rocsparse_matrix_type_20rocsparse_fill_mode_23rocsparse_storage_mode_P22rocsparse_data_status_.num_agpr, 0
	.set _ZN9rocsparseL23check_matrix_csr_deviceILj256ELj16E21rocsparse_complex_numIdEiiEEvT3_S3_T2_PKT1_PKS4_PKS3_SB_21rocsparse_index_base_22rocsparse_matrix_type_20rocsparse_fill_mode_23rocsparse_storage_mode_P22rocsparse_data_status_.numbered_sgpr, 29
	.set _ZN9rocsparseL23check_matrix_csr_deviceILj256ELj16E21rocsparse_complex_numIdEiiEEvT3_S3_T2_PKT1_PKS4_PKS3_SB_21rocsparse_index_base_22rocsparse_matrix_type_20rocsparse_fill_mode_23rocsparse_storage_mode_P22rocsparse_data_status_.num_named_barrier, 0
	.set _ZN9rocsparseL23check_matrix_csr_deviceILj256ELj16E21rocsparse_complex_numIdEiiEEvT3_S3_T2_PKT1_PKS4_PKS3_SB_21rocsparse_index_base_22rocsparse_matrix_type_20rocsparse_fill_mode_23rocsparse_storage_mode_P22rocsparse_data_status_.private_seg_size, 0
	.set _ZN9rocsparseL23check_matrix_csr_deviceILj256ELj16E21rocsparse_complex_numIdEiiEEvT3_S3_T2_PKT1_PKS4_PKS3_SB_21rocsparse_index_base_22rocsparse_matrix_type_20rocsparse_fill_mode_23rocsparse_storage_mode_P22rocsparse_data_status_.uses_vcc, 1
	.set _ZN9rocsparseL23check_matrix_csr_deviceILj256ELj16E21rocsparse_complex_numIdEiiEEvT3_S3_T2_PKT1_PKS4_PKS3_SB_21rocsparse_index_base_22rocsparse_matrix_type_20rocsparse_fill_mode_23rocsparse_storage_mode_P22rocsparse_data_status_.uses_flat_scratch, 0
	.set _ZN9rocsparseL23check_matrix_csr_deviceILj256ELj16E21rocsparse_complex_numIdEiiEEvT3_S3_T2_PKT1_PKS4_PKS3_SB_21rocsparse_index_base_22rocsparse_matrix_type_20rocsparse_fill_mode_23rocsparse_storage_mode_P22rocsparse_data_status_.has_dyn_sized_stack, 0
	.set _ZN9rocsparseL23check_matrix_csr_deviceILj256ELj16E21rocsparse_complex_numIdEiiEEvT3_S3_T2_PKT1_PKS4_PKS3_SB_21rocsparse_index_base_22rocsparse_matrix_type_20rocsparse_fill_mode_23rocsparse_storage_mode_P22rocsparse_data_status_.has_recursion, 0
	.set _ZN9rocsparseL23check_matrix_csr_deviceILj256ELj16E21rocsparse_complex_numIdEiiEEvT3_S3_T2_PKT1_PKS4_PKS3_SB_21rocsparse_index_base_22rocsparse_matrix_type_20rocsparse_fill_mode_23rocsparse_storage_mode_P22rocsparse_data_status_.has_indirect_call, 0
	.section	.AMDGPU.csdata,"",@progbits
; Kernel info:
; codeLenInByte = 1032
; TotalNumSgprs: 31
; NumVgprs: 12
; ScratchSize: 0
; MemoryBound: 0
; FloatMode: 240
; IeeeMode: 1
; LDSByteSize: 0 bytes/workgroup (compile time only)
; SGPRBlocks: 0
; VGPRBlocks: 0
; NumSGPRsForWavesPerEU: 31
; NumVGPRsForWavesPerEU: 12
; NamedBarCnt: 0
; Occupancy: 16
; WaveLimiterHint : 0
; COMPUTE_PGM_RSRC2:SCRATCH_EN: 0
; COMPUTE_PGM_RSRC2:USER_SGPR: 2
; COMPUTE_PGM_RSRC2:TRAP_HANDLER: 0
; COMPUTE_PGM_RSRC2:TGID_X_EN: 1
; COMPUTE_PGM_RSRC2:TGID_Y_EN: 0
; COMPUTE_PGM_RSRC2:TGID_Z_EN: 0
; COMPUTE_PGM_RSRC2:TIDIG_COMP_CNT: 0
	.section	.text._ZN9rocsparseL23check_matrix_csr_deviceILj256ELj32E21rocsparse_complex_numIdEiiEEvT3_S3_T2_PKT1_PKS4_PKS3_SB_21rocsparse_index_base_22rocsparse_matrix_type_20rocsparse_fill_mode_23rocsparse_storage_mode_P22rocsparse_data_status_,"axG",@progbits,_ZN9rocsparseL23check_matrix_csr_deviceILj256ELj32E21rocsparse_complex_numIdEiiEEvT3_S3_T2_PKT1_PKS4_PKS3_SB_21rocsparse_index_base_22rocsparse_matrix_type_20rocsparse_fill_mode_23rocsparse_storage_mode_P22rocsparse_data_status_,comdat
	.globl	_ZN9rocsparseL23check_matrix_csr_deviceILj256ELj32E21rocsparse_complex_numIdEiiEEvT3_S3_T2_PKT1_PKS4_PKS3_SB_21rocsparse_index_base_22rocsparse_matrix_type_20rocsparse_fill_mode_23rocsparse_storage_mode_P22rocsparse_data_status_ ; -- Begin function _ZN9rocsparseL23check_matrix_csr_deviceILj256ELj32E21rocsparse_complex_numIdEiiEEvT3_S3_T2_PKT1_PKS4_PKS3_SB_21rocsparse_index_base_22rocsparse_matrix_type_20rocsparse_fill_mode_23rocsparse_storage_mode_P22rocsparse_data_status_
	.p2align	8
	.type	_ZN9rocsparseL23check_matrix_csr_deviceILj256ELj32E21rocsparse_complex_numIdEiiEEvT3_S3_T2_PKT1_PKS4_PKS3_SB_21rocsparse_index_base_22rocsparse_matrix_type_20rocsparse_fill_mode_23rocsparse_storage_mode_P22rocsparse_data_status_,@function
_ZN9rocsparseL23check_matrix_csr_deviceILj256ELj32E21rocsparse_complex_numIdEiiEEvT3_S3_T2_PKT1_PKS4_PKS3_SB_21rocsparse_index_base_22rocsparse_matrix_type_20rocsparse_fill_mode_23rocsparse_storage_mode_P22rocsparse_data_status_: ; @_ZN9rocsparseL23check_matrix_csr_deviceILj256ELj32E21rocsparse_complex_numIdEiiEEvT3_S3_T2_PKT1_PKS4_PKS3_SB_21rocsparse_index_base_22rocsparse_matrix_type_20rocsparse_fill_mode_23rocsparse_storage_mode_P22rocsparse_data_status_
; %bb.0:
	s_bfe_u32 s2, ttmp6, 0x4000c
	s_load_b64 s[12:13], s[0:1], 0x0
	s_add_co_i32 s2, s2, 1
	s_and_b32 s3, ttmp6, 15
	s_mul_i32 s2, ttmp9, s2
	s_getreg_b32 s4, hwreg(HW_REG_IB_STS2, 6, 4)
	s_add_co_i32 s3, s3, s2
	s_cmp_eq_u32 s4, 0
	s_cselect_b32 s2, ttmp9, s3
	s_delay_alu instid0(SALU_CYCLE_1) | instskip(SKIP_1) | instid1(VALU_DEP_1)
	v_lshl_or_b32 v1, s2, 8, v0
	s_mov_b32 s2, exec_lo
	v_lshrrev_b32_e32 v6, 5, v1
	s_wait_kmcnt 0x0
	s_delay_alu instid0(VALU_DEP_1)
	v_cmpx_gt_i32_e64 s12, v6
	s_cbranch_execz .LBB26_31
; %bb.1:
	s_load_b64 s[2:3], s[0:1], 0x18
	v_dual_lshlrev_b32 v1, 2, v6 :: v_dual_mov_b32 v9, 3
	s_wait_kmcnt 0x0
	global_load_b64 v[2:3], v1, s[2:3]
	s_wait_xcnt 0x0
	s_load_b32 s2, s[2:3], 0x0
	s_wait_loadcnt 0x0
	s_wait_kmcnt 0x0
	v_subrev_nc_u32_e32 v7, s2, v3
	v_subrev_nc_u32_e32 v8, s2, v2
	v_cmp_lt_i32_e64 s2, v3, v2
	s_delay_alu instid0(VALU_DEP_3) | instskip(NEXT) | instid1(VALU_DEP_3)
	v_cmp_gt_i32_e32 vcc_lo, 0, v7
	v_cmp_lt_i32_e64 s3, -1, v8
	s_or_b32 s2, vcc_lo, s2
	s_delay_alu instid0(SALU_CYCLE_1) | instskip(SKIP_2) | instid1(SALU_CYCLE_1)
	s_xor_b32 s4, s2, -1
	s_mov_b32 s2, -1
	s_and_b32 s3, s3, s4
	s_and_saveexec_b32 s12, s3
	s_cbranch_execz .LBB26_29
; %bb.2:
	v_dual_mov_b32 v9, 3 :: v_dual_bitop2_b32 v0, 31, v0 bitop3:0x40
	s_mov_b32 s2, 0
	s_mov_b32 s16, exec_lo
	s_delay_alu instid0(VALU_DEP_1) | instskip(NEXT) | instid1(VALU_DEP_1)
	v_add_nc_u32_e32 v4, v8, v0
	v_cmpx_lt_u32_e64 v4, v7
	s_cbranch_execz .LBB26_28
; %bb.3:
	s_clause 0x1
	s_load_b256 s[4:11], s[0:1], 0x20
	s_load_b64 s[14:15], s[0:1], 0x10
                                        ; implicit-def: $sgpr18
                                        ; implicit-def: $sgpr19
                                        ; implicit-def: $sgpr20
	s_wait_kmcnt 0x0
	s_cmp_lg_u32 s9, 0
	s_cselect_b32 s9, -1, 0
	s_cmp_lg_u32 s10, 0
	s_cselect_b32 s10, -1, 0
	s_cmp_lg_u32 s11, 0
	s_mov_b32 s11, 0
	s_cselect_b32 s17, -1, 0
	s_branch .LBB26_10
.LBB26_4:                               ;   in Loop: Header=BB26_10 Depth=1
	s_or_b32 exec_lo, exec_lo, s27
	s_delay_alu instid0(SALU_CYCLE_1)
	s_or_not1_b32 s28, s3, exec_lo
	s_or_not1_b32 s2, s25, exec_lo
.LBB26_5:                               ;   in Loop: Header=BB26_10 Depth=1
	s_or_b32 exec_lo, exec_lo, s26
	s_delay_alu instid0(SALU_CYCLE_1)
	s_or_not1_b32 s3, s28, exec_lo
	s_or_not1_b32 s2, s2, exec_lo
.LBB26_6:                               ;   in Loop: Header=BB26_10 Depth=1
	s_or_b32 exec_lo, exec_lo, s24
	s_delay_alu instid0(SALU_CYCLE_1)
	s_or_not1_b32 s24, s3, exec_lo
	s_or_not1_b32 s3, s2, exec_lo
.LBB26_7:                               ;   in Loop: Header=BB26_10 Depth=1
	s_or_b32 exec_lo, exec_lo, s23
	s_delay_alu instid0(SALU_CYCLE_1)
	s_or_not1_b32 s23, s24, exec_lo
	s_or_not1_b32 s2, s3, exec_lo
.LBB26_8:                               ;   in Loop: Header=BB26_10 Depth=1
	s_or_b32 exec_lo, exec_lo, s22
	s_delay_alu instid0(SALU_CYCLE_1)
	s_and_not1_b32 s3, s20, exec_lo
	s_and_b32 s20, s23, exec_lo
	s_and_not1_b32 s19, s19, exec_lo
	s_and_b32 s2, s2, exec_lo
	s_or_b32 s20, s3, s20
	s_or_b32 s19, s19, s2
.LBB26_9:                               ;   in Loop: Header=BB26_10 Depth=1
	s_or_b32 exec_lo, exec_lo, s21
	s_delay_alu instid0(SALU_CYCLE_1) | instskip(NEXT) | instid1(SALU_CYCLE_1)
	s_and_b32 s2, exec_lo, s19
	s_or_b32 s11, s2, s11
	s_and_not1_b32 s2, s18, exec_lo
	s_and_b32 s3, s20, exec_lo
	s_delay_alu instid0(SALU_CYCLE_1)
	s_or_b32 s18, s2, s3
	s_and_not1_b32 exec_lo, exec_lo, s11
	s_cbranch_execz .LBB26_27
.LBB26_10:                              ; =>This Inner Loop Header: Depth=1
	global_load_b32 v10, v4, s[4:5] scale_offset
	v_mov_b32_e32 v9, 4
	s_or_b32 s20, s20, exec_lo
	s_or_b32 s19, s19, exec_lo
	s_wait_loadcnt 0x0
	v_subrev_nc_u32_e32 v11, s8, v10
	s_delay_alu instid0(VALU_DEP_1) | instskip(SKIP_2) | instid1(SALU_CYCLE_1)
	v_cmp_lt_i32_e32 vcc_lo, -1, v11
	v_cmp_gt_i32_e64 s2, s13, v11
	s_and_b32 s2, vcc_lo, s2
	s_and_saveexec_b32 s21, s2
	s_cbranch_execz .LBB26_9
; %bb.11:                               ;   in Loop: Header=BB26_10 Depth=1
	v_cmp_le_i32_e64 s25, v4, v8
	v_dual_ashrrev_i32 v5, 31, v4 :: v_dual_mov_b32 v9, 4
	s_mov_b32 s22, exec_lo
	s_mov_b32 s3, s25
	v_cmpx_gt_i32_e64 v4, v8
	s_cbranch_execz .LBB26_13
; %bb.12:                               ;   in Loop: Header=BB26_10 Depth=1
	v_lshl_add_u64 v[0:1], v[4:5], 2, s[6:7]
	v_mov_b32_e32 v9, 5
	global_load_b64 v[0:1], v[0:1], off offset:-4
	s_wait_loadcnt 0x0
	v_subrev_nc_u32_e32 v2, s8, v0
	v_cmp_ne_u32_e64 s3, v1, v0
	s_delay_alu instid0(VALU_DEP_2) | instskip(SKIP_2) | instid1(SALU_CYCLE_1)
	v_cmp_lt_i32_e32 vcc_lo, -1, v2
	v_cmp_gt_i32_e64 s2, s13, v2
	s_and_b32 s2, vcc_lo, s2
	s_xor_b32 s2, s2, -1
	s_delay_alu instid0(SALU_CYCLE_1) | instskip(SKIP_2) | instid1(SALU_CYCLE_1)
	s_or_b32 s2, s3, s2
	s_and_not1_b32 s3, s25, exec_lo
	s_and_b32 s2, s2, exec_lo
	s_or_b32 s3, s3, s2
.LBB26_13:                              ;   in Loop: Header=BB26_10 Depth=1
	s_or_b32 exec_lo, exec_lo, s22
	s_mov_b32 s2, -1
	s_mov_b32 s23, -1
	s_and_saveexec_b32 s22, s3
	s_cbranch_execz .LBB26_8
; %bb.14:                               ;   in Loop: Header=BB26_10 Depth=1
	v_lshl_add_u64 v[0:1], v[4:5], 4, s[14:15]
	v_mov_b32_e32 v9, 1
	s_mov_b32 s3, -1
	s_mov_b32 s24, -1
	global_load_b128 v[0:3], v[0:1], off
	s_wait_loadcnt 0x0
	v_cmp_neq_f64_e32 vcc_lo, 0x7ff00000, v[0:1]
	v_cmp_neq_f64_e64 s2, 0x7ff00000, v[2:3]
	s_and_b32 s2, vcc_lo, s2
	s_delay_alu instid0(SALU_CYCLE_1)
	s_and_saveexec_b32 s23, s2
	s_cbranch_execz .LBB26_7
; %bb.15:                               ;   in Loop: Header=BB26_10 Depth=1
	v_mov_b32_e32 v9, 2
	s_mov_b32 s2, -1
	s_mov_b32 s24, exec_lo
	v_cmpx_o_f64_e32 v[0:1], v[2:3]
	s_cbranch_execz .LBB26_6
; %bb.16:                               ;   in Loop: Header=BB26_10 Depth=1
	s_and_b32 vcc_lo, exec_lo, s9
	s_cbranch_vccz .LBB26_19
; %bb.17:                               ;   in Loop: Header=BB26_10 Depth=1
	s_and_b32 vcc_lo, exec_lo, s10
	s_cbranch_vccz .LBB26_20
; %bb.18:                               ;   in Loop: Header=BB26_10 Depth=1
	v_cmp_le_i32_e32 vcc_lo, v6, v11
	s_mov_b32 s3, 7
	s_and_b32 s27, vcc_lo, exec_lo
	s_cbranch_execz .LBB26_21
	s_branch .LBB26_22
.LBB26_19:                              ;   in Loop: Header=BB26_10 Depth=1
	s_mov_b32 s3, 2
	s_mov_b32 s27, -1
	s_branch .LBB26_22
.LBB26_20:                              ;   in Loop: Header=BB26_10 Depth=1
	s_mov_b32 s27, 0
	s_mov_b32 s3, 2
.LBB26_21:                              ;   in Loop: Header=BB26_10 Depth=1
	v_cmp_ge_i32_e32 vcc_lo, v6, v11
	s_and_not1_b32 s26, s27, exec_lo
	s_mov_b32 s3, 7
	s_and_b32 s27, vcc_lo, exec_lo
	s_delay_alu instid0(SALU_CYCLE_1)
	s_or_b32 s27, s26, s27
.LBB26_22:                              ;   in Loop: Header=BB26_10 Depth=1
	v_mov_b32_e32 v9, s3
	s_mov_b32 s28, -1
	s_and_saveexec_b32 s26, s27
	s_cbranch_execz .LBB26_5
; %bb.23:                               ;   in Loop: Header=BB26_10 Depth=1
	v_mov_b32_e32 v9, s3
	s_nor_b32 s3, s17, s25
	s_mov_b32 s25, -1
	s_and_saveexec_b32 s27, s3
	s_cbranch_execz .LBB26_25
; %bb.24:                               ;   in Loop: Header=BB26_10 Depth=1
	v_lshl_add_u64 v[0:1], v[4:5], 2, s[4:5]
	v_mov_b32_e32 v9, 6
	global_load_b32 v0, v[0:1], off offset:-4
	s_wait_loadcnt 0x0
	v_subrev_nc_u32_e32 v1, s8, v0
	v_cmp_gt_i32_e64 s3, v10, v0
	s_delay_alu instid0(VALU_DEP_2) | instskip(SKIP_2) | instid1(SALU_CYCLE_1)
	v_cmp_lt_i32_e32 vcc_lo, -1, v1
	v_cmp_gt_i32_e64 s2, s13, v1
	s_and_b32 s2, vcc_lo, s2
	s_xor_b32 s2, s2, -1
	s_delay_alu instid0(SALU_CYCLE_1) | instskip(NEXT) | instid1(SALU_CYCLE_1)
	s_or_b32 s2, s3, s2
	s_or_not1_b32 s2, s2, exec_lo
.LBB26_25:                              ;   in Loop: Header=BB26_10 Depth=1
	s_or_b32 exec_lo, exec_lo, s27
	s_mov_b32 s3, -1
	s_and_saveexec_b32 s27, s2
	s_cbranch_execz .LBB26_4
; %bb.26:                               ;   in Loop: Header=BB26_10 Depth=1
	v_add_nc_u32_e32 v4, 32, v4
	s_xor_b32 s3, exec_lo, -1
	s_delay_alu instid0(VALU_DEP_1)
	v_cmp_ge_i32_e32 vcc_lo, v4, v7
	s_or_not1_b32 s25, vcc_lo, exec_lo
	s_branch .LBB26_4
.LBB26_27:
	s_or_b32 exec_lo, exec_lo, s11
	s_delay_alu instid0(SALU_CYCLE_1)
	s_and_b32 s2, s18, exec_lo
.LBB26_28:
	s_or_b32 exec_lo, exec_lo, s16
	s_delay_alu instid0(SALU_CYCLE_1)
	s_or_not1_b32 s2, s2, exec_lo
.LBB26_29:
	s_or_b32 exec_lo, exec_lo, s12
	s_delay_alu instid0(SALU_CYCLE_1)
	s_and_b32 exec_lo, exec_lo, s2
	s_cbranch_execz .LBB26_31
; %bb.30:
	s_load_b64 s[0:1], s[0:1], 0x40
	v_mov_b32_e32 v0, 0
	s_wait_kmcnt 0x0
	global_store_b32 v0, v9, s[0:1]
.LBB26_31:
	s_endpgm
	.section	.rodata,"a",@progbits
	.p2align	6, 0x0
	.amdhsa_kernel _ZN9rocsparseL23check_matrix_csr_deviceILj256ELj32E21rocsparse_complex_numIdEiiEEvT3_S3_T2_PKT1_PKS4_PKS3_SB_21rocsparse_index_base_22rocsparse_matrix_type_20rocsparse_fill_mode_23rocsparse_storage_mode_P22rocsparse_data_status_
		.amdhsa_group_segment_fixed_size 0
		.amdhsa_private_segment_fixed_size 0
		.amdhsa_kernarg_size 72
		.amdhsa_user_sgpr_count 2
		.amdhsa_user_sgpr_dispatch_ptr 0
		.amdhsa_user_sgpr_queue_ptr 0
		.amdhsa_user_sgpr_kernarg_segment_ptr 1
		.amdhsa_user_sgpr_dispatch_id 0
		.amdhsa_user_sgpr_kernarg_preload_length 0
		.amdhsa_user_sgpr_kernarg_preload_offset 0
		.amdhsa_user_sgpr_private_segment_size 0
		.amdhsa_wavefront_size32 1
		.amdhsa_uses_dynamic_stack 0
		.amdhsa_enable_private_segment 0
		.amdhsa_system_sgpr_workgroup_id_x 1
		.amdhsa_system_sgpr_workgroup_id_y 0
		.amdhsa_system_sgpr_workgroup_id_z 0
		.amdhsa_system_sgpr_workgroup_info 0
		.amdhsa_system_vgpr_workitem_id 0
		.amdhsa_next_free_vgpr 12
		.amdhsa_next_free_sgpr 29
		.amdhsa_named_barrier_count 0
		.amdhsa_reserve_vcc 1
		.amdhsa_float_round_mode_32 0
		.amdhsa_float_round_mode_16_64 0
		.amdhsa_float_denorm_mode_32 3
		.amdhsa_float_denorm_mode_16_64 3
		.amdhsa_fp16_overflow 0
		.amdhsa_memory_ordered 1
		.amdhsa_forward_progress 1
		.amdhsa_inst_pref_size 9
		.amdhsa_round_robin_scheduling 0
		.amdhsa_exception_fp_ieee_invalid_op 0
		.amdhsa_exception_fp_denorm_src 0
		.amdhsa_exception_fp_ieee_div_zero 0
		.amdhsa_exception_fp_ieee_overflow 0
		.amdhsa_exception_fp_ieee_underflow 0
		.amdhsa_exception_fp_ieee_inexact 0
		.amdhsa_exception_int_div_zero 0
	.end_amdhsa_kernel
	.section	.text._ZN9rocsparseL23check_matrix_csr_deviceILj256ELj32E21rocsparse_complex_numIdEiiEEvT3_S3_T2_PKT1_PKS4_PKS3_SB_21rocsparse_index_base_22rocsparse_matrix_type_20rocsparse_fill_mode_23rocsparse_storage_mode_P22rocsparse_data_status_,"axG",@progbits,_ZN9rocsparseL23check_matrix_csr_deviceILj256ELj32E21rocsparse_complex_numIdEiiEEvT3_S3_T2_PKT1_PKS4_PKS3_SB_21rocsparse_index_base_22rocsparse_matrix_type_20rocsparse_fill_mode_23rocsparse_storage_mode_P22rocsparse_data_status_,comdat
.Lfunc_end26:
	.size	_ZN9rocsparseL23check_matrix_csr_deviceILj256ELj32E21rocsparse_complex_numIdEiiEEvT3_S3_T2_PKT1_PKS4_PKS3_SB_21rocsparse_index_base_22rocsparse_matrix_type_20rocsparse_fill_mode_23rocsparse_storage_mode_P22rocsparse_data_status_, .Lfunc_end26-_ZN9rocsparseL23check_matrix_csr_deviceILj256ELj32E21rocsparse_complex_numIdEiiEEvT3_S3_T2_PKT1_PKS4_PKS3_SB_21rocsparse_index_base_22rocsparse_matrix_type_20rocsparse_fill_mode_23rocsparse_storage_mode_P22rocsparse_data_status_
                                        ; -- End function
	.set _ZN9rocsparseL23check_matrix_csr_deviceILj256ELj32E21rocsparse_complex_numIdEiiEEvT3_S3_T2_PKT1_PKS4_PKS3_SB_21rocsparse_index_base_22rocsparse_matrix_type_20rocsparse_fill_mode_23rocsparse_storage_mode_P22rocsparse_data_status_.num_vgpr, 12
	.set _ZN9rocsparseL23check_matrix_csr_deviceILj256ELj32E21rocsparse_complex_numIdEiiEEvT3_S3_T2_PKT1_PKS4_PKS3_SB_21rocsparse_index_base_22rocsparse_matrix_type_20rocsparse_fill_mode_23rocsparse_storage_mode_P22rocsparse_data_status_.num_agpr, 0
	.set _ZN9rocsparseL23check_matrix_csr_deviceILj256ELj32E21rocsparse_complex_numIdEiiEEvT3_S3_T2_PKT1_PKS4_PKS3_SB_21rocsparse_index_base_22rocsparse_matrix_type_20rocsparse_fill_mode_23rocsparse_storage_mode_P22rocsparse_data_status_.numbered_sgpr, 29
	.set _ZN9rocsparseL23check_matrix_csr_deviceILj256ELj32E21rocsparse_complex_numIdEiiEEvT3_S3_T2_PKT1_PKS4_PKS3_SB_21rocsparse_index_base_22rocsparse_matrix_type_20rocsparse_fill_mode_23rocsparse_storage_mode_P22rocsparse_data_status_.num_named_barrier, 0
	.set _ZN9rocsparseL23check_matrix_csr_deviceILj256ELj32E21rocsparse_complex_numIdEiiEEvT3_S3_T2_PKT1_PKS4_PKS3_SB_21rocsparse_index_base_22rocsparse_matrix_type_20rocsparse_fill_mode_23rocsparse_storage_mode_P22rocsparse_data_status_.private_seg_size, 0
	.set _ZN9rocsparseL23check_matrix_csr_deviceILj256ELj32E21rocsparse_complex_numIdEiiEEvT3_S3_T2_PKT1_PKS4_PKS3_SB_21rocsparse_index_base_22rocsparse_matrix_type_20rocsparse_fill_mode_23rocsparse_storage_mode_P22rocsparse_data_status_.uses_vcc, 1
	.set _ZN9rocsparseL23check_matrix_csr_deviceILj256ELj32E21rocsparse_complex_numIdEiiEEvT3_S3_T2_PKT1_PKS4_PKS3_SB_21rocsparse_index_base_22rocsparse_matrix_type_20rocsparse_fill_mode_23rocsparse_storage_mode_P22rocsparse_data_status_.uses_flat_scratch, 0
	.set _ZN9rocsparseL23check_matrix_csr_deviceILj256ELj32E21rocsparse_complex_numIdEiiEEvT3_S3_T2_PKT1_PKS4_PKS3_SB_21rocsparse_index_base_22rocsparse_matrix_type_20rocsparse_fill_mode_23rocsparse_storage_mode_P22rocsparse_data_status_.has_dyn_sized_stack, 0
	.set _ZN9rocsparseL23check_matrix_csr_deviceILj256ELj32E21rocsparse_complex_numIdEiiEEvT3_S3_T2_PKT1_PKS4_PKS3_SB_21rocsparse_index_base_22rocsparse_matrix_type_20rocsparse_fill_mode_23rocsparse_storage_mode_P22rocsparse_data_status_.has_recursion, 0
	.set _ZN9rocsparseL23check_matrix_csr_deviceILj256ELj32E21rocsparse_complex_numIdEiiEEvT3_S3_T2_PKT1_PKS4_PKS3_SB_21rocsparse_index_base_22rocsparse_matrix_type_20rocsparse_fill_mode_23rocsparse_storage_mode_P22rocsparse_data_status_.has_indirect_call, 0
	.section	.AMDGPU.csdata,"",@progbits
; Kernel info:
; codeLenInByte = 1032
; TotalNumSgprs: 31
; NumVgprs: 12
; ScratchSize: 0
; MemoryBound: 0
; FloatMode: 240
; IeeeMode: 1
; LDSByteSize: 0 bytes/workgroup (compile time only)
; SGPRBlocks: 0
; VGPRBlocks: 0
; NumSGPRsForWavesPerEU: 31
; NumVGPRsForWavesPerEU: 12
; NamedBarCnt: 0
; Occupancy: 16
; WaveLimiterHint : 0
; COMPUTE_PGM_RSRC2:SCRATCH_EN: 0
; COMPUTE_PGM_RSRC2:USER_SGPR: 2
; COMPUTE_PGM_RSRC2:TRAP_HANDLER: 0
; COMPUTE_PGM_RSRC2:TGID_X_EN: 1
; COMPUTE_PGM_RSRC2:TGID_Y_EN: 0
; COMPUTE_PGM_RSRC2:TGID_Z_EN: 0
; COMPUTE_PGM_RSRC2:TIDIG_COMP_CNT: 0
	.section	.text._ZN9rocsparseL23check_matrix_csr_deviceILj256ELj64E21rocsparse_complex_numIdEiiEEvT3_S3_T2_PKT1_PKS4_PKS3_SB_21rocsparse_index_base_22rocsparse_matrix_type_20rocsparse_fill_mode_23rocsparse_storage_mode_P22rocsparse_data_status_,"axG",@progbits,_ZN9rocsparseL23check_matrix_csr_deviceILj256ELj64E21rocsparse_complex_numIdEiiEEvT3_S3_T2_PKT1_PKS4_PKS3_SB_21rocsparse_index_base_22rocsparse_matrix_type_20rocsparse_fill_mode_23rocsparse_storage_mode_P22rocsparse_data_status_,comdat
	.globl	_ZN9rocsparseL23check_matrix_csr_deviceILj256ELj64E21rocsparse_complex_numIdEiiEEvT3_S3_T2_PKT1_PKS4_PKS3_SB_21rocsparse_index_base_22rocsparse_matrix_type_20rocsparse_fill_mode_23rocsparse_storage_mode_P22rocsparse_data_status_ ; -- Begin function _ZN9rocsparseL23check_matrix_csr_deviceILj256ELj64E21rocsparse_complex_numIdEiiEEvT3_S3_T2_PKT1_PKS4_PKS3_SB_21rocsparse_index_base_22rocsparse_matrix_type_20rocsparse_fill_mode_23rocsparse_storage_mode_P22rocsparse_data_status_
	.p2align	8
	.type	_ZN9rocsparseL23check_matrix_csr_deviceILj256ELj64E21rocsparse_complex_numIdEiiEEvT3_S3_T2_PKT1_PKS4_PKS3_SB_21rocsparse_index_base_22rocsparse_matrix_type_20rocsparse_fill_mode_23rocsparse_storage_mode_P22rocsparse_data_status_,@function
_ZN9rocsparseL23check_matrix_csr_deviceILj256ELj64E21rocsparse_complex_numIdEiiEEvT3_S3_T2_PKT1_PKS4_PKS3_SB_21rocsparse_index_base_22rocsparse_matrix_type_20rocsparse_fill_mode_23rocsparse_storage_mode_P22rocsparse_data_status_: ; @_ZN9rocsparseL23check_matrix_csr_deviceILj256ELj64E21rocsparse_complex_numIdEiiEEvT3_S3_T2_PKT1_PKS4_PKS3_SB_21rocsparse_index_base_22rocsparse_matrix_type_20rocsparse_fill_mode_23rocsparse_storage_mode_P22rocsparse_data_status_
; %bb.0:
	s_bfe_u32 s2, ttmp6, 0x4000c
	s_load_b64 s[12:13], s[0:1], 0x0
	s_add_co_i32 s2, s2, 1
	s_and_b32 s3, ttmp6, 15
	s_mul_i32 s2, ttmp9, s2
	s_getreg_b32 s4, hwreg(HW_REG_IB_STS2, 6, 4)
	s_add_co_i32 s3, s3, s2
	s_cmp_eq_u32 s4, 0
	s_cselect_b32 s2, ttmp9, s3
	s_delay_alu instid0(SALU_CYCLE_1) | instskip(SKIP_1) | instid1(VALU_DEP_1)
	v_lshl_or_b32 v1, s2, 8, v0
	s_mov_b32 s2, exec_lo
	v_lshrrev_b32_e32 v6, 6, v1
	s_wait_kmcnt 0x0
	s_delay_alu instid0(VALU_DEP_1)
	v_cmpx_gt_i32_e64 s12, v6
	s_cbranch_execz .LBB27_31
; %bb.1:
	s_load_b64 s[2:3], s[0:1], 0x18
	v_dual_lshlrev_b32 v1, 2, v6 :: v_dual_mov_b32 v9, 3
	s_wait_kmcnt 0x0
	global_load_b64 v[2:3], v1, s[2:3]
	s_wait_xcnt 0x0
	s_load_b32 s2, s[2:3], 0x0
	s_wait_loadcnt 0x0
	s_wait_kmcnt 0x0
	v_subrev_nc_u32_e32 v7, s2, v3
	v_subrev_nc_u32_e32 v8, s2, v2
	v_cmp_lt_i32_e64 s2, v3, v2
	s_delay_alu instid0(VALU_DEP_3) | instskip(NEXT) | instid1(VALU_DEP_3)
	v_cmp_gt_i32_e32 vcc_lo, 0, v7
	v_cmp_lt_i32_e64 s3, -1, v8
	s_or_b32 s2, vcc_lo, s2
	s_delay_alu instid0(SALU_CYCLE_1) | instskip(SKIP_2) | instid1(SALU_CYCLE_1)
	s_xor_b32 s4, s2, -1
	s_mov_b32 s2, -1
	s_and_b32 s3, s3, s4
	s_and_saveexec_b32 s12, s3
	s_cbranch_execz .LBB27_29
; %bb.2:
	v_dual_mov_b32 v9, 3 :: v_dual_bitop2_b32 v0, 63, v0 bitop3:0x40
	s_mov_b32 s2, 0
	s_mov_b32 s16, exec_lo
	s_delay_alu instid0(VALU_DEP_1) | instskip(NEXT) | instid1(VALU_DEP_1)
	v_add_nc_u32_e32 v4, v8, v0
	v_cmpx_lt_u32_e64 v4, v7
	s_cbranch_execz .LBB27_28
; %bb.3:
	s_clause 0x1
	s_load_b256 s[4:11], s[0:1], 0x20
	s_load_b64 s[14:15], s[0:1], 0x10
                                        ; implicit-def: $sgpr18
                                        ; implicit-def: $sgpr19
                                        ; implicit-def: $sgpr20
	s_wait_kmcnt 0x0
	s_cmp_lg_u32 s9, 0
	s_cselect_b32 s9, -1, 0
	s_cmp_lg_u32 s10, 0
	s_cselect_b32 s10, -1, 0
	s_cmp_lg_u32 s11, 0
	s_mov_b32 s11, 0
	s_cselect_b32 s17, -1, 0
	s_branch .LBB27_10
.LBB27_4:                               ;   in Loop: Header=BB27_10 Depth=1
	s_or_b32 exec_lo, exec_lo, s27
	s_delay_alu instid0(SALU_CYCLE_1)
	s_or_not1_b32 s28, s3, exec_lo
	s_or_not1_b32 s2, s25, exec_lo
.LBB27_5:                               ;   in Loop: Header=BB27_10 Depth=1
	s_or_b32 exec_lo, exec_lo, s26
	s_delay_alu instid0(SALU_CYCLE_1)
	s_or_not1_b32 s3, s28, exec_lo
	s_or_not1_b32 s2, s2, exec_lo
.LBB27_6:                               ;   in Loop: Header=BB27_10 Depth=1
	s_or_b32 exec_lo, exec_lo, s24
	s_delay_alu instid0(SALU_CYCLE_1)
	s_or_not1_b32 s24, s3, exec_lo
	s_or_not1_b32 s3, s2, exec_lo
.LBB27_7:                               ;   in Loop: Header=BB27_10 Depth=1
	s_or_b32 exec_lo, exec_lo, s23
	s_delay_alu instid0(SALU_CYCLE_1)
	s_or_not1_b32 s23, s24, exec_lo
	s_or_not1_b32 s2, s3, exec_lo
.LBB27_8:                               ;   in Loop: Header=BB27_10 Depth=1
	s_or_b32 exec_lo, exec_lo, s22
	s_delay_alu instid0(SALU_CYCLE_1)
	s_and_not1_b32 s3, s20, exec_lo
	s_and_b32 s20, s23, exec_lo
	s_and_not1_b32 s19, s19, exec_lo
	s_and_b32 s2, s2, exec_lo
	s_or_b32 s20, s3, s20
	s_or_b32 s19, s19, s2
.LBB27_9:                               ;   in Loop: Header=BB27_10 Depth=1
	s_or_b32 exec_lo, exec_lo, s21
	s_delay_alu instid0(SALU_CYCLE_1) | instskip(NEXT) | instid1(SALU_CYCLE_1)
	s_and_b32 s2, exec_lo, s19
	s_or_b32 s11, s2, s11
	s_and_not1_b32 s2, s18, exec_lo
	s_and_b32 s3, s20, exec_lo
	s_delay_alu instid0(SALU_CYCLE_1)
	s_or_b32 s18, s2, s3
	s_and_not1_b32 exec_lo, exec_lo, s11
	s_cbranch_execz .LBB27_27
.LBB27_10:                              ; =>This Inner Loop Header: Depth=1
	global_load_b32 v10, v4, s[4:5] scale_offset
	v_mov_b32_e32 v9, 4
	s_or_b32 s20, s20, exec_lo
	s_or_b32 s19, s19, exec_lo
	s_wait_loadcnt 0x0
	v_subrev_nc_u32_e32 v11, s8, v10
	s_delay_alu instid0(VALU_DEP_1) | instskip(SKIP_2) | instid1(SALU_CYCLE_1)
	v_cmp_lt_i32_e32 vcc_lo, -1, v11
	v_cmp_gt_i32_e64 s2, s13, v11
	s_and_b32 s2, vcc_lo, s2
	s_and_saveexec_b32 s21, s2
	s_cbranch_execz .LBB27_9
; %bb.11:                               ;   in Loop: Header=BB27_10 Depth=1
	v_cmp_le_i32_e64 s25, v4, v8
	v_dual_ashrrev_i32 v5, 31, v4 :: v_dual_mov_b32 v9, 4
	s_mov_b32 s22, exec_lo
	s_mov_b32 s3, s25
	v_cmpx_gt_i32_e64 v4, v8
	s_cbranch_execz .LBB27_13
; %bb.12:                               ;   in Loop: Header=BB27_10 Depth=1
	v_lshl_add_u64 v[0:1], v[4:5], 2, s[6:7]
	v_mov_b32_e32 v9, 5
	global_load_b64 v[0:1], v[0:1], off offset:-4
	s_wait_loadcnt 0x0
	v_subrev_nc_u32_e32 v2, s8, v0
	v_cmp_ne_u32_e64 s3, v1, v0
	s_delay_alu instid0(VALU_DEP_2) | instskip(SKIP_2) | instid1(SALU_CYCLE_1)
	v_cmp_lt_i32_e32 vcc_lo, -1, v2
	v_cmp_gt_i32_e64 s2, s13, v2
	s_and_b32 s2, vcc_lo, s2
	s_xor_b32 s2, s2, -1
	s_delay_alu instid0(SALU_CYCLE_1) | instskip(SKIP_2) | instid1(SALU_CYCLE_1)
	s_or_b32 s2, s3, s2
	s_and_not1_b32 s3, s25, exec_lo
	s_and_b32 s2, s2, exec_lo
	s_or_b32 s3, s3, s2
.LBB27_13:                              ;   in Loop: Header=BB27_10 Depth=1
	s_or_b32 exec_lo, exec_lo, s22
	s_mov_b32 s2, -1
	s_mov_b32 s23, -1
	s_and_saveexec_b32 s22, s3
	s_cbranch_execz .LBB27_8
; %bb.14:                               ;   in Loop: Header=BB27_10 Depth=1
	v_lshl_add_u64 v[0:1], v[4:5], 4, s[14:15]
	v_mov_b32_e32 v9, 1
	s_mov_b32 s3, -1
	s_mov_b32 s24, -1
	global_load_b128 v[0:3], v[0:1], off
	s_wait_loadcnt 0x0
	v_cmp_neq_f64_e32 vcc_lo, 0x7ff00000, v[0:1]
	v_cmp_neq_f64_e64 s2, 0x7ff00000, v[2:3]
	s_and_b32 s2, vcc_lo, s2
	s_delay_alu instid0(SALU_CYCLE_1)
	s_and_saveexec_b32 s23, s2
	s_cbranch_execz .LBB27_7
; %bb.15:                               ;   in Loop: Header=BB27_10 Depth=1
	v_mov_b32_e32 v9, 2
	s_mov_b32 s2, -1
	s_mov_b32 s24, exec_lo
	v_cmpx_o_f64_e32 v[0:1], v[2:3]
	s_cbranch_execz .LBB27_6
; %bb.16:                               ;   in Loop: Header=BB27_10 Depth=1
	s_and_b32 vcc_lo, exec_lo, s9
	s_cbranch_vccz .LBB27_19
; %bb.17:                               ;   in Loop: Header=BB27_10 Depth=1
	s_and_b32 vcc_lo, exec_lo, s10
	s_cbranch_vccz .LBB27_20
; %bb.18:                               ;   in Loop: Header=BB27_10 Depth=1
	v_cmp_le_i32_e32 vcc_lo, v6, v11
	s_mov_b32 s3, 7
	s_and_b32 s27, vcc_lo, exec_lo
	s_cbranch_execz .LBB27_21
	s_branch .LBB27_22
.LBB27_19:                              ;   in Loop: Header=BB27_10 Depth=1
	s_mov_b32 s3, 2
	s_mov_b32 s27, -1
	s_branch .LBB27_22
.LBB27_20:                              ;   in Loop: Header=BB27_10 Depth=1
	s_mov_b32 s27, 0
	s_mov_b32 s3, 2
.LBB27_21:                              ;   in Loop: Header=BB27_10 Depth=1
	v_cmp_ge_i32_e32 vcc_lo, v6, v11
	s_and_not1_b32 s26, s27, exec_lo
	s_mov_b32 s3, 7
	s_and_b32 s27, vcc_lo, exec_lo
	s_delay_alu instid0(SALU_CYCLE_1)
	s_or_b32 s27, s26, s27
.LBB27_22:                              ;   in Loop: Header=BB27_10 Depth=1
	v_mov_b32_e32 v9, s3
	s_mov_b32 s28, -1
	s_and_saveexec_b32 s26, s27
	s_cbranch_execz .LBB27_5
; %bb.23:                               ;   in Loop: Header=BB27_10 Depth=1
	v_mov_b32_e32 v9, s3
	s_nor_b32 s3, s17, s25
	s_mov_b32 s25, -1
	s_and_saveexec_b32 s27, s3
	s_cbranch_execz .LBB27_25
; %bb.24:                               ;   in Loop: Header=BB27_10 Depth=1
	v_lshl_add_u64 v[0:1], v[4:5], 2, s[4:5]
	v_mov_b32_e32 v9, 6
	global_load_b32 v0, v[0:1], off offset:-4
	s_wait_loadcnt 0x0
	v_subrev_nc_u32_e32 v1, s8, v0
	v_cmp_gt_i32_e64 s3, v10, v0
	s_delay_alu instid0(VALU_DEP_2) | instskip(SKIP_2) | instid1(SALU_CYCLE_1)
	v_cmp_lt_i32_e32 vcc_lo, -1, v1
	v_cmp_gt_i32_e64 s2, s13, v1
	s_and_b32 s2, vcc_lo, s2
	s_xor_b32 s2, s2, -1
	s_delay_alu instid0(SALU_CYCLE_1) | instskip(NEXT) | instid1(SALU_CYCLE_1)
	s_or_b32 s2, s3, s2
	s_or_not1_b32 s2, s2, exec_lo
.LBB27_25:                              ;   in Loop: Header=BB27_10 Depth=1
	s_or_b32 exec_lo, exec_lo, s27
	s_mov_b32 s3, -1
	s_and_saveexec_b32 s27, s2
	s_cbranch_execz .LBB27_4
; %bb.26:                               ;   in Loop: Header=BB27_10 Depth=1
	v_add_nc_u32_e32 v4, 64, v4
	s_xor_b32 s3, exec_lo, -1
	s_delay_alu instid0(VALU_DEP_1)
	v_cmp_ge_i32_e32 vcc_lo, v4, v7
	s_or_not1_b32 s25, vcc_lo, exec_lo
	s_branch .LBB27_4
.LBB27_27:
	s_or_b32 exec_lo, exec_lo, s11
	s_delay_alu instid0(SALU_CYCLE_1)
	s_and_b32 s2, s18, exec_lo
.LBB27_28:
	s_or_b32 exec_lo, exec_lo, s16
	s_delay_alu instid0(SALU_CYCLE_1)
	s_or_not1_b32 s2, s2, exec_lo
.LBB27_29:
	s_or_b32 exec_lo, exec_lo, s12
	s_delay_alu instid0(SALU_CYCLE_1)
	s_and_b32 exec_lo, exec_lo, s2
	s_cbranch_execz .LBB27_31
; %bb.30:
	s_load_b64 s[0:1], s[0:1], 0x40
	v_mov_b32_e32 v0, 0
	s_wait_kmcnt 0x0
	global_store_b32 v0, v9, s[0:1]
.LBB27_31:
	s_endpgm
	.section	.rodata,"a",@progbits
	.p2align	6, 0x0
	.amdhsa_kernel _ZN9rocsparseL23check_matrix_csr_deviceILj256ELj64E21rocsparse_complex_numIdEiiEEvT3_S3_T2_PKT1_PKS4_PKS3_SB_21rocsparse_index_base_22rocsparse_matrix_type_20rocsparse_fill_mode_23rocsparse_storage_mode_P22rocsparse_data_status_
		.amdhsa_group_segment_fixed_size 0
		.amdhsa_private_segment_fixed_size 0
		.amdhsa_kernarg_size 72
		.amdhsa_user_sgpr_count 2
		.amdhsa_user_sgpr_dispatch_ptr 0
		.amdhsa_user_sgpr_queue_ptr 0
		.amdhsa_user_sgpr_kernarg_segment_ptr 1
		.amdhsa_user_sgpr_dispatch_id 0
		.amdhsa_user_sgpr_kernarg_preload_length 0
		.amdhsa_user_sgpr_kernarg_preload_offset 0
		.amdhsa_user_sgpr_private_segment_size 0
		.amdhsa_wavefront_size32 1
		.amdhsa_uses_dynamic_stack 0
		.amdhsa_enable_private_segment 0
		.amdhsa_system_sgpr_workgroup_id_x 1
		.amdhsa_system_sgpr_workgroup_id_y 0
		.amdhsa_system_sgpr_workgroup_id_z 0
		.amdhsa_system_sgpr_workgroup_info 0
		.amdhsa_system_vgpr_workitem_id 0
		.amdhsa_next_free_vgpr 12
		.amdhsa_next_free_sgpr 29
		.amdhsa_named_barrier_count 0
		.amdhsa_reserve_vcc 1
		.amdhsa_float_round_mode_32 0
		.amdhsa_float_round_mode_16_64 0
		.amdhsa_float_denorm_mode_32 3
		.amdhsa_float_denorm_mode_16_64 3
		.amdhsa_fp16_overflow 0
		.amdhsa_memory_ordered 1
		.amdhsa_forward_progress 1
		.amdhsa_inst_pref_size 9
		.amdhsa_round_robin_scheduling 0
		.amdhsa_exception_fp_ieee_invalid_op 0
		.amdhsa_exception_fp_denorm_src 0
		.amdhsa_exception_fp_ieee_div_zero 0
		.amdhsa_exception_fp_ieee_overflow 0
		.amdhsa_exception_fp_ieee_underflow 0
		.amdhsa_exception_fp_ieee_inexact 0
		.amdhsa_exception_int_div_zero 0
	.end_amdhsa_kernel
	.section	.text._ZN9rocsparseL23check_matrix_csr_deviceILj256ELj64E21rocsparse_complex_numIdEiiEEvT3_S3_T2_PKT1_PKS4_PKS3_SB_21rocsparse_index_base_22rocsparse_matrix_type_20rocsparse_fill_mode_23rocsparse_storage_mode_P22rocsparse_data_status_,"axG",@progbits,_ZN9rocsparseL23check_matrix_csr_deviceILj256ELj64E21rocsparse_complex_numIdEiiEEvT3_S3_T2_PKT1_PKS4_PKS3_SB_21rocsparse_index_base_22rocsparse_matrix_type_20rocsparse_fill_mode_23rocsparse_storage_mode_P22rocsparse_data_status_,comdat
.Lfunc_end27:
	.size	_ZN9rocsparseL23check_matrix_csr_deviceILj256ELj64E21rocsparse_complex_numIdEiiEEvT3_S3_T2_PKT1_PKS4_PKS3_SB_21rocsparse_index_base_22rocsparse_matrix_type_20rocsparse_fill_mode_23rocsparse_storage_mode_P22rocsparse_data_status_, .Lfunc_end27-_ZN9rocsparseL23check_matrix_csr_deviceILj256ELj64E21rocsparse_complex_numIdEiiEEvT3_S3_T2_PKT1_PKS4_PKS3_SB_21rocsparse_index_base_22rocsparse_matrix_type_20rocsparse_fill_mode_23rocsparse_storage_mode_P22rocsparse_data_status_
                                        ; -- End function
	.set _ZN9rocsparseL23check_matrix_csr_deviceILj256ELj64E21rocsparse_complex_numIdEiiEEvT3_S3_T2_PKT1_PKS4_PKS3_SB_21rocsparse_index_base_22rocsparse_matrix_type_20rocsparse_fill_mode_23rocsparse_storage_mode_P22rocsparse_data_status_.num_vgpr, 12
	.set _ZN9rocsparseL23check_matrix_csr_deviceILj256ELj64E21rocsparse_complex_numIdEiiEEvT3_S3_T2_PKT1_PKS4_PKS3_SB_21rocsparse_index_base_22rocsparse_matrix_type_20rocsparse_fill_mode_23rocsparse_storage_mode_P22rocsparse_data_status_.num_agpr, 0
	.set _ZN9rocsparseL23check_matrix_csr_deviceILj256ELj64E21rocsparse_complex_numIdEiiEEvT3_S3_T2_PKT1_PKS4_PKS3_SB_21rocsparse_index_base_22rocsparse_matrix_type_20rocsparse_fill_mode_23rocsparse_storage_mode_P22rocsparse_data_status_.numbered_sgpr, 29
	.set _ZN9rocsparseL23check_matrix_csr_deviceILj256ELj64E21rocsparse_complex_numIdEiiEEvT3_S3_T2_PKT1_PKS4_PKS3_SB_21rocsparse_index_base_22rocsparse_matrix_type_20rocsparse_fill_mode_23rocsparse_storage_mode_P22rocsparse_data_status_.num_named_barrier, 0
	.set _ZN9rocsparseL23check_matrix_csr_deviceILj256ELj64E21rocsparse_complex_numIdEiiEEvT3_S3_T2_PKT1_PKS4_PKS3_SB_21rocsparse_index_base_22rocsparse_matrix_type_20rocsparse_fill_mode_23rocsparse_storage_mode_P22rocsparse_data_status_.private_seg_size, 0
	.set _ZN9rocsparseL23check_matrix_csr_deviceILj256ELj64E21rocsparse_complex_numIdEiiEEvT3_S3_T2_PKT1_PKS4_PKS3_SB_21rocsparse_index_base_22rocsparse_matrix_type_20rocsparse_fill_mode_23rocsparse_storage_mode_P22rocsparse_data_status_.uses_vcc, 1
	.set _ZN9rocsparseL23check_matrix_csr_deviceILj256ELj64E21rocsparse_complex_numIdEiiEEvT3_S3_T2_PKT1_PKS4_PKS3_SB_21rocsparse_index_base_22rocsparse_matrix_type_20rocsparse_fill_mode_23rocsparse_storage_mode_P22rocsparse_data_status_.uses_flat_scratch, 0
	.set _ZN9rocsparseL23check_matrix_csr_deviceILj256ELj64E21rocsparse_complex_numIdEiiEEvT3_S3_T2_PKT1_PKS4_PKS3_SB_21rocsparse_index_base_22rocsparse_matrix_type_20rocsparse_fill_mode_23rocsparse_storage_mode_P22rocsparse_data_status_.has_dyn_sized_stack, 0
	.set _ZN9rocsparseL23check_matrix_csr_deviceILj256ELj64E21rocsparse_complex_numIdEiiEEvT3_S3_T2_PKT1_PKS4_PKS3_SB_21rocsparse_index_base_22rocsparse_matrix_type_20rocsparse_fill_mode_23rocsparse_storage_mode_P22rocsparse_data_status_.has_recursion, 0
	.set _ZN9rocsparseL23check_matrix_csr_deviceILj256ELj64E21rocsparse_complex_numIdEiiEEvT3_S3_T2_PKT1_PKS4_PKS3_SB_21rocsparse_index_base_22rocsparse_matrix_type_20rocsparse_fill_mode_23rocsparse_storage_mode_P22rocsparse_data_status_.has_indirect_call, 0
	.section	.AMDGPU.csdata,"",@progbits
; Kernel info:
; codeLenInByte = 1032
; TotalNumSgprs: 31
; NumVgprs: 12
; ScratchSize: 0
; MemoryBound: 0
; FloatMode: 240
; IeeeMode: 1
; LDSByteSize: 0 bytes/workgroup (compile time only)
; SGPRBlocks: 0
; VGPRBlocks: 0
; NumSGPRsForWavesPerEU: 31
; NumVGPRsForWavesPerEU: 12
; NamedBarCnt: 0
; Occupancy: 16
; WaveLimiterHint : 0
; COMPUTE_PGM_RSRC2:SCRATCH_EN: 0
; COMPUTE_PGM_RSRC2:USER_SGPR: 2
; COMPUTE_PGM_RSRC2:TRAP_HANDLER: 0
; COMPUTE_PGM_RSRC2:TGID_X_EN: 1
; COMPUTE_PGM_RSRC2:TGID_Y_EN: 0
; COMPUTE_PGM_RSRC2:TGID_Z_EN: 0
; COMPUTE_PGM_RSRC2:TIDIG_COMP_CNT: 0
	.section	.text._ZN9rocsparseL23check_matrix_csr_deviceILj256ELj128E21rocsparse_complex_numIdEiiEEvT3_S3_T2_PKT1_PKS4_PKS3_SB_21rocsparse_index_base_22rocsparse_matrix_type_20rocsparse_fill_mode_23rocsparse_storage_mode_P22rocsparse_data_status_,"axG",@progbits,_ZN9rocsparseL23check_matrix_csr_deviceILj256ELj128E21rocsparse_complex_numIdEiiEEvT3_S3_T2_PKT1_PKS4_PKS3_SB_21rocsparse_index_base_22rocsparse_matrix_type_20rocsparse_fill_mode_23rocsparse_storage_mode_P22rocsparse_data_status_,comdat
	.globl	_ZN9rocsparseL23check_matrix_csr_deviceILj256ELj128E21rocsparse_complex_numIdEiiEEvT3_S3_T2_PKT1_PKS4_PKS3_SB_21rocsparse_index_base_22rocsparse_matrix_type_20rocsparse_fill_mode_23rocsparse_storage_mode_P22rocsparse_data_status_ ; -- Begin function _ZN9rocsparseL23check_matrix_csr_deviceILj256ELj128E21rocsparse_complex_numIdEiiEEvT3_S3_T2_PKT1_PKS4_PKS3_SB_21rocsparse_index_base_22rocsparse_matrix_type_20rocsparse_fill_mode_23rocsparse_storage_mode_P22rocsparse_data_status_
	.p2align	8
	.type	_ZN9rocsparseL23check_matrix_csr_deviceILj256ELj128E21rocsparse_complex_numIdEiiEEvT3_S3_T2_PKT1_PKS4_PKS3_SB_21rocsparse_index_base_22rocsparse_matrix_type_20rocsparse_fill_mode_23rocsparse_storage_mode_P22rocsparse_data_status_,@function
_ZN9rocsparseL23check_matrix_csr_deviceILj256ELj128E21rocsparse_complex_numIdEiiEEvT3_S3_T2_PKT1_PKS4_PKS3_SB_21rocsparse_index_base_22rocsparse_matrix_type_20rocsparse_fill_mode_23rocsparse_storage_mode_P22rocsparse_data_status_: ; @_ZN9rocsparseL23check_matrix_csr_deviceILj256ELj128E21rocsparse_complex_numIdEiiEEvT3_S3_T2_PKT1_PKS4_PKS3_SB_21rocsparse_index_base_22rocsparse_matrix_type_20rocsparse_fill_mode_23rocsparse_storage_mode_P22rocsparse_data_status_
; %bb.0:
	s_bfe_u32 s2, ttmp6, 0x4000c
	s_load_b64 s[12:13], s[0:1], 0x0
	s_add_co_i32 s2, s2, 1
	s_and_b32 s3, ttmp6, 15
	s_mul_i32 s2, ttmp9, s2
	s_getreg_b32 s4, hwreg(HW_REG_IB_STS2, 6, 4)
	s_add_co_i32 s3, s3, s2
	s_cmp_eq_u32 s4, 0
	s_cselect_b32 s2, ttmp9, s3
	s_delay_alu instid0(SALU_CYCLE_1) | instskip(SKIP_1) | instid1(VALU_DEP_1)
	v_lshl_or_b32 v1, s2, 8, v0
	s_mov_b32 s2, exec_lo
	v_lshrrev_b32_e32 v6, 7, v1
	s_wait_kmcnt 0x0
	s_delay_alu instid0(VALU_DEP_1)
	v_cmpx_gt_i32_e64 s12, v6
	s_cbranch_execz .LBB28_31
; %bb.1:
	s_load_b64 s[2:3], s[0:1], 0x18
	v_dual_lshlrev_b32 v1, 2, v6 :: v_dual_mov_b32 v9, 3
	s_wait_kmcnt 0x0
	global_load_b64 v[2:3], v1, s[2:3]
	s_wait_xcnt 0x0
	s_load_b32 s2, s[2:3], 0x0
	s_wait_loadcnt 0x0
	s_wait_kmcnt 0x0
	v_subrev_nc_u32_e32 v7, s2, v3
	v_subrev_nc_u32_e32 v8, s2, v2
	v_cmp_lt_i32_e64 s2, v3, v2
	s_delay_alu instid0(VALU_DEP_3) | instskip(NEXT) | instid1(VALU_DEP_3)
	v_cmp_gt_i32_e32 vcc_lo, 0, v7
	v_cmp_lt_i32_e64 s3, -1, v8
	s_or_b32 s2, vcc_lo, s2
	s_delay_alu instid0(SALU_CYCLE_1) | instskip(SKIP_2) | instid1(SALU_CYCLE_1)
	s_xor_b32 s4, s2, -1
	s_mov_b32 s2, -1
	s_and_b32 s3, s3, s4
	s_and_saveexec_b32 s12, s3
	s_cbranch_execz .LBB28_29
; %bb.2:
	v_and_b32_e32 v0, 0x7f, v0
	s_mov_b32 s2, 0
	s_mov_b32 s16, exec_lo
	s_delay_alu instid0(VALU_DEP_1) | instskip(NEXT) | instid1(VALU_DEP_1)
	v_dual_mov_b32 v9, 3 :: v_dual_add_nc_u32 v4, v8, v0
	v_cmpx_lt_u32_e64 v4, v7
	s_cbranch_execz .LBB28_28
; %bb.3:
	s_clause 0x1
	s_load_b256 s[4:11], s[0:1], 0x20
	s_load_b64 s[14:15], s[0:1], 0x10
                                        ; implicit-def: $sgpr18
                                        ; implicit-def: $sgpr19
                                        ; implicit-def: $sgpr20
	s_wait_kmcnt 0x0
	s_cmp_lg_u32 s9, 0
	s_cselect_b32 s9, -1, 0
	s_cmp_lg_u32 s10, 0
	s_cselect_b32 s10, -1, 0
	s_cmp_lg_u32 s11, 0
	s_mov_b32 s11, 0
	s_cselect_b32 s17, -1, 0
	s_branch .LBB28_10
.LBB28_4:                               ;   in Loop: Header=BB28_10 Depth=1
	s_or_b32 exec_lo, exec_lo, s27
	s_delay_alu instid0(SALU_CYCLE_1)
	s_or_not1_b32 s28, s3, exec_lo
	s_or_not1_b32 s2, s25, exec_lo
.LBB28_5:                               ;   in Loop: Header=BB28_10 Depth=1
	s_or_b32 exec_lo, exec_lo, s26
	s_delay_alu instid0(SALU_CYCLE_1)
	s_or_not1_b32 s3, s28, exec_lo
	s_or_not1_b32 s2, s2, exec_lo
.LBB28_6:                               ;   in Loop: Header=BB28_10 Depth=1
	s_or_b32 exec_lo, exec_lo, s24
	s_delay_alu instid0(SALU_CYCLE_1)
	s_or_not1_b32 s24, s3, exec_lo
	s_or_not1_b32 s3, s2, exec_lo
.LBB28_7:                               ;   in Loop: Header=BB28_10 Depth=1
	s_or_b32 exec_lo, exec_lo, s23
	s_delay_alu instid0(SALU_CYCLE_1)
	s_or_not1_b32 s23, s24, exec_lo
	s_or_not1_b32 s2, s3, exec_lo
.LBB28_8:                               ;   in Loop: Header=BB28_10 Depth=1
	s_or_b32 exec_lo, exec_lo, s22
	s_delay_alu instid0(SALU_CYCLE_1)
	s_and_not1_b32 s3, s20, exec_lo
	s_and_b32 s20, s23, exec_lo
	s_and_not1_b32 s19, s19, exec_lo
	s_and_b32 s2, s2, exec_lo
	s_or_b32 s20, s3, s20
	s_or_b32 s19, s19, s2
.LBB28_9:                               ;   in Loop: Header=BB28_10 Depth=1
	s_or_b32 exec_lo, exec_lo, s21
	s_delay_alu instid0(SALU_CYCLE_1) | instskip(NEXT) | instid1(SALU_CYCLE_1)
	s_and_b32 s2, exec_lo, s19
	s_or_b32 s11, s2, s11
	s_and_not1_b32 s2, s18, exec_lo
	s_and_b32 s3, s20, exec_lo
	s_delay_alu instid0(SALU_CYCLE_1)
	s_or_b32 s18, s2, s3
	s_and_not1_b32 exec_lo, exec_lo, s11
	s_cbranch_execz .LBB28_27
.LBB28_10:                              ; =>This Inner Loop Header: Depth=1
	global_load_b32 v10, v4, s[4:5] scale_offset
	v_mov_b32_e32 v9, 4
	s_or_b32 s20, s20, exec_lo
	s_or_b32 s19, s19, exec_lo
	s_wait_loadcnt 0x0
	v_subrev_nc_u32_e32 v11, s8, v10
	s_delay_alu instid0(VALU_DEP_1) | instskip(SKIP_2) | instid1(SALU_CYCLE_1)
	v_cmp_lt_i32_e32 vcc_lo, -1, v11
	v_cmp_gt_i32_e64 s2, s13, v11
	s_and_b32 s2, vcc_lo, s2
	s_and_saveexec_b32 s21, s2
	s_cbranch_execz .LBB28_9
; %bb.11:                               ;   in Loop: Header=BB28_10 Depth=1
	v_cmp_le_i32_e64 s25, v4, v8
	v_dual_ashrrev_i32 v5, 31, v4 :: v_dual_mov_b32 v9, 4
	s_mov_b32 s22, exec_lo
	s_mov_b32 s3, s25
	v_cmpx_gt_i32_e64 v4, v8
	s_cbranch_execz .LBB28_13
; %bb.12:                               ;   in Loop: Header=BB28_10 Depth=1
	v_lshl_add_u64 v[0:1], v[4:5], 2, s[6:7]
	v_mov_b32_e32 v9, 5
	global_load_b64 v[0:1], v[0:1], off offset:-4
	s_wait_loadcnt 0x0
	v_subrev_nc_u32_e32 v2, s8, v0
	v_cmp_ne_u32_e64 s3, v1, v0
	s_delay_alu instid0(VALU_DEP_2) | instskip(SKIP_2) | instid1(SALU_CYCLE_1)
	v_cmp_lt_i32_e32 vcc_lo, -1, v2
	v_cmp_gt_i32_e64 s2, s13, v2
	s_and_b32 s2, vcc_lo, s2
	s_xor_b32 s2, s2, -1
	s_delay_alu instid0(SALU_CYCLE_1) | instskip(SKIP_2) | instid1(SALU_CYCLE_1)
	s_or_b32 s2, s3, s2
	s_and_not1_b32 s3, s25, exec_lo
	s_and_b32 s2, s2, exec_lo
	s_or_b32 s3, s3, s2
.LBB28_13:                              ;   in Loop: Header=BB28_10 Depth=1
	s_or_b32 exec_lo, exec_lo, s22
	s_mov_b32 s2, -1
	s_mov_b32 s23, -1
	s_and_saveexec_b32 s22, s3
	s_cbranch_execz .LBB28_8
; %bb.14:                               ;   in Loop: Header=BB28_10 Depth=1
	v_lshl_add_u64 v[0:1], v[4:5], 4, s[14:15]
	v_mov_b32_e32 v9, 1
	s_mov_b32 s3, -1
	s_mov_b32 s24, -1
	global_load_b128 v[0:3], v[0:1], off
	s_wait_loadcnt 0x0
	v_cmp_neq_f64_e32 vcc_lo, 0x7ff00000, v[0:1]
	v_cmp_neq_f64_e64 s2, 0x7ff00000, v[2:3]
	s_and_b32 s2, vcc_lo, s2
	s_delay_alu instid0(SALU_CYCLE_1)
	s_and_saveexec_b32 s23, s2
	s_cbranch_execz .LBB28_7
; %bb.15:                               ;   in Loop: Header=BB28_10 Depth=1
	v_mov_b32_e32 v9, 2
	s_mov_b32 s2, -1
	s_mov_b32 s24, exec_lo
	v_cmpx_o_f64_e32 v[0:1], v[2:3]
	s_cbranch_execz .LBB28_6
; %bb.16:                               ;   in Loop: Header=BB28_10 Depth=1
	s_and_b32 vcc_lo, exec_lo, s9
	s_cbranch_vccz .LBB28_19
; %bb.17:                               ;   in Loop: Header=BB28_10 Depth=1
	s_and_b32 vcc_lo, exec_lo, s10
	s_cbranch_vccz .LBB28_20
; %bb.18:                               ;   in Loop: Header=BB28_10 Depth=1
	v_cmp_le_i32_e32 vcc_lo, v6, v11
	s_mov_b32 s3, 7
	s_and_b32 s27, vcc_lo, exec_lo
	s_cbranch_execz .LBB28_21
	s_branch .LBB28_22
.LBB28_19:                              ;   in Loop: Header=BB28_10 Depth=1
	s_mov_b32 s3, 2
	s_mov_b32 s27, -1
	s_branch .LBB28_22
.LBB28_20:                              ;   in Loop: Header=BB28_10 Depth=1
	s_mov_b32 s27, 0
	s_mov_b32 s3, 2
.LBB28_21:                              ;   in Loop: Header=BB28_10 Depth=1
	v_cmp_ge_i32_e32 vcc_lo, v6, v11
	s_and_not1_b32 s26, s27, exec_lo
	s_mov_b32 s3, 7
	s_and_b32 s27, vcc_lo, exec_lo
	s_delay_alu instid0(SALU_CYCLE_1)
	s_or_b32 s27, s26, s27
.LBB28_22:                              ;   in Loop: Header=BB28_10 Depth=1
	v_mov_b32_e32 v9, s3
	s_mov_b32 s28, -1
	s_and_saveexec_b32 s26, s27
	s_cbranch_execz .LBB28_5
; %bb.23:                               ;   in Loop: Header=BB28_10 Depth=1
	v_mov_b32_e32 v9, s3
	s_nor_b32 s3, s17, s25
	s_mov_b32 s25, -1
	s_and_saveexec_b32 s27, s3
	s_cbranch_execz .LBB28_25
; %bb.24:                               ;   in Loop: Header=BB28_10 Depth=1
	v_lshl_add_u64 v[0:1], v[4:5], 2, s[4:5]
	v_mov_b32_e32 v9, 6
	global_load_b32 v0, v[0:1], off offset:-4
	s_wait_loadcnt 0x0
	v_subrev_nc_u32_e32 v1, s8, v0
	v_cmp_gt_i32_e64 s3, v10, v0
	s_delay_alu instid0(VALU_DEP_2) | instskip(SKIP_2) | instid1(SALU_CYCLE_1)
	v_cmp_lt_i32_e32 vcc_lo, -1, v1
	v_cmp_gt_i32_e64 s2, s13, v1
	s_and_b32 s2, vcc_lo, s2
	s_xor_b32 s2, s2, -1
	s_delay_alu instid0(SALU_CYCLE_1) | instskip(NEXT) | instid1(SALU_CYCLE_1)
	s_or_b32 s2, s3, s2
	s_or_not1_b32 s2, s2, exec_lo
.LBB28_25:                              ;   in Loop: Header=BB28_10 Depth=1
	s_or_b32 exec_lo, exec_lo, s27
	s_mov_b32 s3, -1
	s_and_saveexec_b32 s27, s2
	s_cbranch_execz .LBB28_4
; %bb.26:                               ;   in Loop: Header=BB28_10 Depth=1
	v_add_nc_u32_e32 v4, 0x80, v4
	s_xor_b32 s3, exec_lo, -1
	s_delay_alu instid0(VALU_DEP_1)
	v_cmp_ge_i32_e32 vcc_lo, v4, v7
	s_or_not1_b32 s25, vcc_lo, exec_lo
	s_branch .LBB28_4
.LBB28_27:
	s_or_b32 exec_lo, exec_lo, s11
	s_delay_alu instid0(SALU_CYCLE_1)
	s_and_b32 s2, s18, exec_lo
.LBB28_28:
	s_or_b32 exec_lo, exec_lo, s16
	s_delay_alu instid0(SALU_CYCLE_1)
	s_or_not1_b32 s2, s2, exec_lo
.LBB28_29:
	s_or_b32 exec_lo, exec_lo, s12
	s_delay_alu instid0(SALU_CYCLE_1)
	s_and_b32 exec_lo, exec_lo, s2
	s_cbranch_execz .LBB28_31
; %bb.30:
	s_load_b64 s[0:1], s[0:1], 0x40
	v_mov_b32_e32 v0, 0
	s_wait_kmcnt 0x0
	global_store_b32 v0, v9, s[0:1]
.LBB28_31:
	s_endpgm
	.section	.rodata,"a",@progbits
	.p2align	6, 0x0
	.amdhsa_kernel _ZN9rocsparseL23check_matrix_csr_deviceILj256ELj128E21rocsparse_complex_numIdEiiEEvT3_S3_T2_PKT1_PKS4_PKS3_SB_21rocsparse_index_base_22rocsparse_matrix_type_20rocsparse_fill_mode_23rocsparse_storage_mode_P22rocsparse_data_status_
		.amdhsa_group_segment_fixed_size 0
		.amdhsa_private_segment_fixed_size 0
		.amdhsa_kernarg_size 72
		.amdhsa_user_sgpr_count 2
		.amdhsa_user_sgpr_dispatch_ptr 0
		.amdhsa_user_sgpr_queue_ptr 0
		.amdhsa_user_sgpr_kernarg_segment_ptr 1
		.amdhsa_user_sgpr_dispatch_id 0
		.amdhsa_user_sgpr_kernarg_preload_length 0
		.amdhsa_user_sgpr_kernarg_preload_offset 0
		.amdhsa_user_sgpr_private_segment_size 0
		.amdhsa_wavefront_size32 1
		.amdhsa_uses_dynamic_stack 0
		.amdhsa_enable_private_segment 0
		.amdhsa_system_sgpr_workgroup_id_x 1
		.amdhsa_system_sgpr_workgroup_id_y 0
		.amdhsa_system_sgpr_workgroup_id_z 0
		.amdhsa_system_sgpr_workgroup_info 0
		.amdhsa_system_vgpr_workitem_id 0
		.amdhsa_next_free_vgpr 12
		.amdhsa_next_free_sgpr 29
		.amdhsa_named_barrier_count 0
		.amdhsa_reserve_vcc 1
		.amdhsa_float_round_mode_32 0
		.amdhsa_float_round_mode_16_64 0
		.amdhsa_float_denorm_mode_32 3
		.amdhsa_float_denorm_mode_16_64 3
		.amdhsa_fp16_overflow 0
		.amdhsa_memory_ordered 1
		.amdhsa_forward_progress 1
		.amdhsa_inst_pref_size 9
		.amdhsa_round_robin_scheduling 0
		.amdhsa_exception_fp_ieee_invalid_op 0
		.amdhsa_exception_fp_denorm_src 0
		.amdhsa_exception_fp_ieee_div_zero 0
		.amdhsa_exception_fp_ieee_overflow 0
		.amdhsa_exception_fp_ieee_underflow 0
		.amdhsa_exception_fp_ieee_inexact 0
		.amdhsa_exception_int_div_zero 0
	.end_amdhsa_kernel
	.section	.text._ZN9rocsparseL23check_matrix_csr_deviceILj256ELj128E21rocsparse_complex_numIdEiiEEvT3_S3_T2_PKT1_PKS4_PKS3_SB_21rocsparse_index_base_22rocsparse_matrix_type_20rocsparse_fill_mode_23rocsparse_storage_mode_P22rocsparse_data_status_,"axG",@progbits,_ZN9rocsparseL23check_matrix_csr_deviceILj256ELj128E21rocsparse_complex_numIdEiiEEvT3_S3_T2_PKT1_PKS4_PKS3_SB_21rocsparse_index_base_22rocsparse_matrix_type_20rocsparse_fill_mode_23rocsparse_storage_mode_P22rocsparse_data_status_,comdat
.Lfunc_end28:
	.size	_ZN9rocsparseL23check_matrix_csr_deviceILj256ELj128E21rocsparse_complex_numIdEiiEEvT3_S3_T2_PKT1_PKS4_PKS3_SB_21rocsparse_index_base_22rocsparse_matrix_type_20rocsparse_fill_mode_23rocsparse_storage_mode_P22rocsparse_data_status_, .Lfunc_end28-_ZN9rocsparseL23check_matrix_csr_deviceILj256ELj128E21rocsparse_complex_numIdEiiEEvT3_S3_T2_PKT1_PKS4_PKS3_SB_21rocsparse_index_base_22rocsparse_matrix_type_20rocsparse_fill_mode_23rocsparse_storage_mode_P22rocsparse_data_status_
                                        ; -- End function
	.set _ZN9rocsparseL23check_matrix_csr_deviceILj256ELj128E21rocsparse_complex_numIdEiiEEvT3_S3_T2_PKT1_PKS4_PKS3_SB_21rocsparse_index_base_22rocsparse_matrix_type_20rocsparse_fill_mode_23rocsparse_storage_mode_P22rocsparse_data_status_.num_vgpr, 12
	.set _ZN9rocsparseL23check_matrix_csr_deviceILj256ELj128E21rocsparse_complex_numIdEiiEEvT3_S3_T2_PKT1_PKS4_PKS3_SB_21rocsparse_index_base_22rocsparse_matrix_type_20rocsparse_fill_mode_23rocsparse_storage_mode_P22rocsparse_data_status_.num_agpr, 0
	.set _ZN9rocsparseL23check_matrix_csr_deviceILj256ELj128E21rocsparse_complex_numIdEiiEEvT3_S3_T2_PKT1_PKS4_PKS3_SB_21rocsparse_index_base_22rocsparse_matrix_type_20rocsparse_fill_mode_23rocsparse_storage_mode_P22rocsparse_data_status_.numbered_sgpr, 29
	.set _ZN9rocsparseL23check_matrix_csr_deviceILj256ELj128E21rocsparse_complex_numIdEiiEEvT3_S3_T2_PKT1_PKS4_PKS3_SB_21rocsparse_index_base_22rocsparse_matrix_type_20rocsparse_fill_mode_23rocsparse_storage_mode_P22rocsparse_data_status_.num_named_barrier, 0
	.set _ZN9rocsparseL23check_matrix_csr_deviceILj256ELj128E21rocsparse_complex_numIdEiiEEvT3_S3_T2_PKT1_PKS4_PKS3_SB_21rocsparse_index_base_22rocsparse_matrix_type_20rocsparse_fill_mode_23rocsparse_storage_mode_P22rocsparse_data_status_.private_seg_size, 0
	.set _ZN9rocsparseL23check_matrix_csr_deviceILj256ELj128E21rocsparse_complex_numIdEiiEEvT3_S3_T2_PKT1_PKS4_PKS3_SB_21rocsparse_index_base_22rocsparse_matrix_type_20rocsparse_fill_mode_23rocsparse_storage_mode_P22rocsparse_data_status_.uses_vcc, 1
	.set _ZN9rocsparseL23check_matrix_csr_deviceILj256ELj128E21rocsparse_complex_numIdEiiEEvT3_S3_T2_PKT1_PKS4_PKS3_SB_21rocsparse_index_base_22rocsparse_matrix_type_20rocsparse_fill_mode_23rocsparse_storage_mode_P22rocsparse_data_status_.uses_flat_scratch, 0
	.set _ZN9rocsparseL23check_matrix_csr_deviceILj256ELj128E21rocsparse_complex_numIdEiiEEvT3_S3_T2_PKT1_PKS4_PKS3_SB_21rocsparse_index_base_22rocsparse_matrix_type_20rocsparse_fill_mode_23rocsparse_storage_mode_P22rocsparse_data_status_.has_dyn_sized_stack, 0
	.set _ZN9rocsparseL23check_matrix_csr_deviceILj256ELj128E21rocsparse_complex_numIdEiiEEvT3_S3_T2_PKT1_PKS4_PKS3_SB_21rocsparse_index_base_22rocsparse_matrix_type_20rocsparse_fill_mode_23rocsparse_storage_mode_P22rocsparse_data_status_.has_recursion, 0
	.set _ZN9rocsparseL23check_matrix_csr_deviceILj256ELj128E21rocsparse_complex_numIdEiiEEvT3_S3_T2_PKT1_PKS4_PKS3_SB_21rocsparse_index_base_22rocsparse_matrix_type_20rocsparse_fill_mode_23rocsparse_storage_mode_P22rocsparse_data_status_.has_indirect_call, 0
	.section	.AMDGPU.csdata,"",@progbits
; Kernel info:
; codeLenInByte = 1036
; TotalNumSgprs: 31
; NumVgprs: 12
; ScratchSize: 0
; MemoryBound: 0
; FloatMode: 240
; IeeeMode: 1
; LDSByteSize: 0 bytes/workgroup (compile time only)
; SGPRBlocks: 0
; VGPRBlocks: 0
; NumSGPRsForWavesPerEU: 31
; NumVGPRsForWavesPerEU: 12
; NamedBarCnt: 0
; Occupancy: 16
; WaveLimiterHint : 0
; COMPUTE_PGM_RSRC2:SCRATCH_EN: 0
; COMPUTE_PGM_RSRC2:USER_SGPR: 2
; COMPUTE_PGM_RSRC2:TRAP_HANDLER: 0
; COMPUTE_PGM_RSRC2:TGID_X_EN: 1
; COMPUTE_PGM_RSRC2:TGID_Y_EN: 0
; COMPUTE_PGM_RSRC2:TGID_Z_EN: 0
; COMPUTE_PGM_RSRC2:TIDIG_COMP_CNT: 0
	.section	.text._ZN9rocsparseL23check_matrix_csr_deviceILj256ELj256E21rocsparse_complex_numIdEiiEEvT3_S3_T2_PKT1_PKS4_PKS3_SB_21rocsparse_index_base_22rocsparse_matrix_type_20rocsparse_fill_mode_23rocsparse_storage_mode_P22rocsparse_data_status_,"axG",@progbits,_ZN9rocsparseL23check_matrix_csr_deviceILj256ELj256E21rocsparse_complex_numIdEiiEEvT3_S3_T2_PKT1_PKS4_PKS3_SB_21rocsparse_index_base_22rocsparse_matrix_type_20rocsparse_fill_mode_23rocsparse_storage_mode_P22rocsparse_data_status_,comdat
	.globl	_ZN9rocsparseL23check_matrix_csr_deviceILj256ELj256E21rocsparse_complex_numIdEiiEEvT3_S3_T2_PKT1_PKS4_PKS3_SB_21rocsparse_index_base_22rocsparse_matrix_type_20rocsparse_fill_mode_23rocsparse_storage_mode_P22rocsparse_data_status_ ; -- Begin function _ZN9rocsparseL23check_matrix_csr_deviceILj256ELj256E21rocsparse_complex_numIdEiiEEvT3_S3_T2_PKT1_PKS4_PKS3_SB_21rocsparse_index_base_22rocsparse_matrix_type_20rocsparse_fill_mode_23rocsparse_storage_mode_P22rocsparse_data_status_
	.p2align	8
	.type	_ZN9rocsparseL23check_matrix_csr_deviceILj256ELj256E21rocsparse_complex_numIdEiiEEvT3_S3_T2_PKT1_PKS4_PKS3_SB_21rocsparse_index_base_22rocsparse_matrix_type_20rocsparse_fill_mode_23rocsparse_storage_mode_P22rocsparse_data_status_,@function
_ZN9rocsparseL23check_matrix_csr_deviceILj256ELj256E21rocsparse_complex_numIdEiiEEvT3_S3_T2_PKT1_PKS4_PKS3_SB_21rocsparse_index_base_22rocsparse_matrix_type_20rocsparse_fill_mode_23rocsparse_storage_mode_P22rocsparse_data_status_: ; @_ZN9rocsparseL23check_matrix_csr_deviceILj256ELj256E21rocsparse_complex_numIdEiiEEvT3_S3_T2_PKT1_PKS4_PKS3_SB_21rocsparse_index_base_22rocsparse_matrix_type_20rocsparse_fill_mode_23rocsparse_storage_mode_P22rocsparse_data_status_
; %bb.0:
	s_load_b64 s[12:13], s[0:1], 0x0
	s_bfe_u32 s2, ttmp6, 0x4000c
	s_and_b32 s3, ttmp6, 15
	s_add_co_i32 s2, s2, 1
	s_getreg_b32 s4, hwreg(HW_REG_IB_STS2, 6, 4)
	s_mul_i32 s2, ttmp9, s2
	s_delay_alu instid0(SALU_CYCLE_1) | instskip(SKIP_2) | instid1(SALU_CYCLE_1)
	s_add_co_i32 s3, s3, s2
	s_cmp_eq_u32 s4, 0
	s_cselect_b32 s2, ttmp9, s3
	s_and_b32 s16, s2, 0xffffff
	s_wait_kmcnt 0x0
	s_cmp_lt_i32 s16, s12
	s_cselect_b32 s2, -1, 0
	s_delay_alu instid0(SALU_CYCLE_1)
	s_and_saveexec_b32 s3, s2
	s_cbranch_execz .LBB29_31
; %bb.1:
	s_load_b64 s[2:3], s[0:1], 0x18
	v_lshlrev_b32_e64 v1, 2, s16
	v_mov_b32_e32 v8, 3
	s_wait_kmcnt 0x0
	global_load_b64 v[2:3], v1, s[2:3]
	s_wait_xcnt 0x0
	s_load_b32 s2, s[2:3], 0x0
	s_wait_loadcnt 0x0
	s_wait_kmcnt 0x0
	v_subrev_nc_u32_e32 v6, s2, v3
	v_subrev_nc_u32_e32 v7, s2, v2
	v_cmp_lt_i32_e64 s2, v3, v2
	s_delay_alu instid0(VALU_DEP_3) | instskip(NEXT) | instid1(VALU_DEP_3)
	v_cmp_gt_i32_e32 vcc_lo, 0, v6
	v_cmp_lt_i32_e64 s3, -1, v7
	s_or_b32 s2, vcc_lo, s2
	s_delay_alu instid0(SALU_CYCLE_1) | instskip(SKIP_2) | instid1(SALU_CYCLE_1)
	s_xor_b32 s4, s2, -1
	s_mov_b32 s2, -1
	s_and_b32 s3, s3, s4
	s_and_saveexec_b32 s12, s3
	s_cbranch_execz .LBB29_29
; %bb.2:
	v_dual_add_nc_u32 v4, v7, v0 :: v_dual_mov_b32 v8, 3
	s_mov_b32 s2, 0
	s_mov_b32 s17, exec_lo
	s_delay_alu instid0(VALU_DEP_1)
	v_cmpx_lt_u32_e64 v4, v6
	s_cbranch_execz .LBB29_28
; %bb.3:
	s_clause 0x1
	s_load_b256 s[4:11], s[0:1], 0x20
	s_load_b64 s[14:15], s[0:1], 0x10
                                        ; implicit-def: $sgpr19
                                        ; implicit-def: $sgpr20
                                        ; implicit-def: $sgpr21
	s_wait_kmcnt 0x0
	s_cmp_lg_u32 s9, 0
	s_cselect_b32 s9, -1, 0
	s_cmp_lg_u32 s10, 0
	s_cselect_b32 s10, -1, 0
	s_cmp_lg_u32 s11, 0
	s_mov_b32 s11, 0
	s_cselect_b32 s18, -1, 0
	s_branch .LBB29_10
.LBB29_4:                               ;   in Loop: Header=BB29_10 Depth=1
	s_or_b32 exec_lo, exec_lo, s28
	s_delay_alu instid0(SALU_CYCLE_1)
	s_or_not1_b32 s29, s3, exec_lo
	s_or_not1_b32 s2, s26, exec_lo
.LBB29_5:                               ;   in Loop: Header=BB29_10 Depth=1
	s_or_b32 exec_lo, exec_lo, s27
	s_delay_alu instid0(SALU_CYCLE_1)
	s_or_not1_b32 s3, s29, exec_lo
	s_or_not1_b32 s2, s2, exec_lo
.LBB29_6:                               ;   in Loop: Header=BB29_10 Depth=1
	s_or_b32 exec_lo, exec_lo, s25
	s_delay_alu instid0(SALU_CYCLE_1)
	s_or_not1_b32 s25, s3, exec_lo
	s_or_not1_b32 s3, s2, exec_lo
.LBB29_7:                               ;   in Loop: Header=BB29_10 Depth=1
	s_or_b32 exec_lo, exec_lo, s24
	s_delay_alu instid0(SALU_CYCLE_1)
	s_or_not1_b32 s24, s25, exec_lo
	s_or_not1_b32 s2, s3, exec_lo
.LBB29_8:                               ;   in Loop: Header=BB29_10 Depth=1
	s_or_b32 exec_lo, exec_lo, s23
	s_delay_alu instid0(SALU_CYCLE_1)
	s_and_not1_b32 s3, s21, exec_lo
	s_and_b32 s21, s24, exec_lo
	s_and_not1_b32 s20, s20, exec_lo
	s_and_b32 s2, s2, exec_lo
	s_or_b32 s21, s3, s21
	s_or_b32 s20, s20, s2
.LBB29_9:                               ;   in Loop: Header=BB29_10 Depth=1
	s_or_b32 exec_lo, exec_lo, s22
	s_delay_alu instid0(SALU_CYCLE_1) | instskip(NEXT) | instid1(SALU_CYCLE_1)
	s_and_b32 s2, exec_lo, s20
	s_or_b32 s11, s2, s11
	s_and_not1_b32 s2, s19, exec_lo
	s_and_b32 s3, s21, exec_lo
	s_delay_alu instid0(SALU_CYCLE_1)
	s_or_b32 s19, s2, s3
	s_and_not1_b32 exec_lo, exec_lo, s11
	s_cbranch_execz .LBB29_27
.LBB29_10:                              ; =>This Inner Loop Header: Depth=1
	global_load_b32 v9, v4, s[4:5] scale_offset
	v_mov_b32_e32 v8, 4
	s_or_b32 s21, s21, exec_lo
	s_or_b32 s20, s20, exec_lo
	s_wait_loadcnt 0x0
	v_subrev_nc_u32_e32 v10, s8, v9
	s_delay_alu instid0(VALU_DEP_1) | instskip(SKIP_2) | instid1(SALU_CYCLE_1)
	v_cmp_lt_i32_e32 vcc_lo, -1, v10
	v_cmp_gt_i32_e64 s2, s13, v10
	s_and_b32 s2, vcc_lo, s2
	s_and_saveexec_b32 s22, s2
	s_cbranch_execz .LBB29_9
; %bb.11:                               ;   in Loop: Header=BB29_10 Depth=1
	v_cmp_le_i32_e64 s26, v4, v7
	v_dual_mov_b32 v8, 4 :: v_dual_ashrrev_i32 v5, 31, v4
	s_mov_b32 s23, exec_lo
	s_mov_b32 s3, s26
	v_cmpx_gt_i32_e64 v4, v7
	s_cbranch_execz .LBB29_13
; %bb.12:                               ;   in Loop: Header=BB29_10 Depth=1
	v_lshl_add_u64 v[0:1], v[4:5], 2, s[6:7]
	v_mov_b32_e32 v8, 5
	global_load_b64 v[0:1], v[0:1], off offset:-4
	s_wait_loadcnt 0x0
	v_subrev_nc_u32_e32 v2, s8, v0
	v_cmp_ne_u32_e64 s3, v1, v0
	s_delay_alu instid0(VALU_DEP_2) | instskip(SKIP_2) | instid1(SALU_CYCLE_1)
	v_cmp_lt_i32_e32 vcc_lo, -1, v2
	v_cmp_gt_i32_e64 s2, s13, v2
	s_and_b32 s2, vcc_lo, s2
	s_xor_b32 s2, s2, -1
	s_delay_alu instid0(SALU_CYCLE_1) | instskip(SKIP_2) | instid1(SALU_CYCLE_1)
	s_or_b32 s2, s3, s2
	s_and_not1_b32 s3, s26, exec_lo
	s_and_b32 s2, s2, exec_lo
	s_or_b32 s3, s3, s2
.LBB29_13:                              ;   in Loop: Header=BB29_10 Depth=1
	s_or_b32 exec_lo, exec_lo, s23
	s_mov_b32 s2, -1
	s_mov_b32 s24, -1
	s_and_saveexec_b32 s23, s3
	s_cbranch_execz .LBB29_8
; %bb.14:                               ;   in Loop: Header=BB29_10 Depth=1
	v_lshl_add_u64 v[0:1], v[4:5], 4, s[14:15]
	v_mov_b32_e32 v8, 1
	s_mov_b32 s3, -1
	s_mov_b32 s25, -1
	global_load_b128 v[0:3], v[0:1], off
	s_wait_loadcnt 0x0
	v_cmp_neq_f64_e32 vcc_lo, 0x7ff00000, v[0:1]
	v_cmp_neq_f64_e64 s2, 0x7ff00000, v[2:3]
	s_and_b32 s2, vcc_lo, s2
	s_delay_alu instid0(SALU_CYCLE_1)
	s_and_saveexec_b32 s24, s2
	s_cbranch_execz .LBB29_7
; %bb.15:                               ;   in Loop: Header=BB29_10 Depth=1
	v_mov_b32_e32 v8, 2
	s_mov_b32 s2, -1
	s_mov_b32 s25, exec_lo
	v_cmpx_o_f64_e32 v[0:1], v[2:3]
	s_cbranch_execz .LBB29_6
; %bb.16:                               ;   in Loop: Header=BB29_10 Depth=1
	s_and_b32 vcc_lo, exec_lo, s9
	s_cbranch_vccz .LBB29_19
; %bb.17:                               ;   in Loop: Header=BB29_10 Depth=1
	s_and_b32 vcc_lo, exec_lo, s10
	s_cbranch_vccz .LBB29_20
; %bb.18:                               ;   in Loop: Header=BB29_10 Depth=1
	v_cmp_le_i32_e32 vcc_lo, s16, v10
	s_mov_b32 s3, 7
	s_and_b32 s28, vcc_lo, exec_lo
	s_cbranch_execz .LBB29_21
	s_branch .LBB29_22
.LBB29_19:                              ;   in Loop: Header=BB29_10 Depth=1
	s_mov_b32 s3, 2
	s_mov_b32 s28, -1
	s_branch .LBB29_22
.LBB29_20:                              ;   in Loop: Header=BB29_10 Depth=1
	s_mov_b32 s28, 0
	s_mov_b32 s3, 2
.LBB29_21:                              ;   in Loop: Header=BB29_10 Depth=1
	v_cmp_ge_i32_e32 vcc_lo, s16, v10
	s_and_not1_b32 s27, s28, exec_lo
	s_mov_b32 s3, 7
	s_and_b32 s28, vcc_lo, exec_lo
	s_delay_alu instid0(SALU_CYCLE_1)
	s_or_b32 s28, s27, s28
.LBB29_22:                              ;   in Loop: Header=BB29_10 Depth=1
	v_mov_b32_e32 v8, s3
	s_mov_b32 s29, -1
	s_and_saveexec_b32 s27, s28
	s_cbranch_execz .LBB29_5
; %bb.23:                               ;   in Loop: Header=BB29_10 Depth=1
	v_mov_b32_e32 v8, s3
	s_nor_b32 s3, s18, s26
	s_mov_b32 s26, -1
	s_and_saveexec_b32 s28, s3
	s_cbranch_execz .LBB29_25
; %bb.24:                               ;   in Loop: Header=BB29_10 Depth=1
	v_lshl_add_u64 v[0:1], v[4:5], 2, s[4:5]
	v_mov_b32_e32 v8, 6
	global_load_b32 v0, v[0:1], off offset:-4
	s_wait_loadcnt 0x0
	v_subrev_nc_u32_e32 v1, s8, v0
	v_cmp_gt_i32_e64 s3, v9, v0
	s_delay_alu instid0(VALU_DEP_2) | instskip(SKIP_2) | instid1(SALU_CYCLE_1)
	v_cmp_lt_i32_e32 vcc_lo, -1, v1
	v_cmp_gt_i32_e64 s2, s13, v1
	s_and_b32 s2, vcc_lo, s2
	s_xor_b32 s2, s2, -1
	s_delay_alu instid0(SALU_CYCLE_1) | instskip(NEXT) | instid1(SALU_CYCLE_1)
	s_or_b32 s2, s3, s2
	s_or_not1_b32 s2, s2, exec_lo
.LBB29_25:                              ;   in Loop: Header=BB29_10 Depth=1
	s_or_b32 exec_lo, exec_lo, s28
	s_mov_b32 s3, -1
	s_and_saveexec_b32 s28, s2
	s_cbranch_execz .LBB29_4
; %bb.26:                               ;   in Loop: Header=BB29_10 Depth=1
	v_add_nc_u32_e32 v4, 0x100, v4
	s_xor_b32 s3, exec_lo, -1
	s_delay_alu instid0(VALU_DEP_1)
	v_cmp_ge_i32_e32 vcc_lo, v4, v6
	s_or_not1_b32 s26, vcc_lo, exec_lo
	s_branch .LBB29_4
.LBB29_27:
	s_or_b32 exec_lo, exec_lo, s11
	s_delay_alu instid0(SALU_CYCLE_1)
	s_and_b32 s2, s19, exec_lo
.LBB29_28:
	s_or_b32 exec_lo, exec_lo, s17
	s_delay_alu instid0(SALU_CYCLE_1)
	s_or_not1_b32 s2, s2, exec_lo
.LBB29_29:
	s_or_b32 exec_lo, exec_lo, s12
	s_delay_alu instid0(SALU_CYCLE_1)
	s_and_b32 exec_lo, exec_lo, s2
	s_cbranch_execz .LBB29_31
; %bb.30:
	s_load_b64 s[0:1], s[0:1], 0x40
	v_mov_b32_e32 v0, 0
	s_wait_kmcnt 0x0
	global_store_b32 v0, v8, s[0:1]
.LBB29_31:
	s_endpgm
	.section	.rodata,"a",@progbits
	.p2align	6, 0x0
	.amdhsa_kernel _ZN9rocsparseL23check_matrix_csr_deviceILj256ELj256E21rocsparse_complex_numIdEiiEEvT3_S3_T2_PKT1_PKS4_PKS3_SB_21rocsparse_index_base_22rocsparse_matrix_type_20rocsparse_fill_mode_23rocsparse_storage_mode_P22rocsparse_data_status_
		.amdhsa_group_segment_fixed_size 0
		.amdhsa_private_segment_fixed_size 0
		.amdhsa_kernarg_size 72
		.amdhsa_user_sgpr_count 2
		.amdhsa_user_sgpr_dispatch_ptr 0
		.amdhsa_user_sgpr_queue_ptr 0
		.amdhsa_user_sgpr_kernarg_segment_ptr 1
		.amdhsa_user_sgpr_dispatch_id 0
		.amdhsa_user_sgpr_kernarg_preload_length 0
		.amdhsa_user_sgpr_kernarg_preload_offset 0
		.amdhsa_user_sgpr_private_segment_size 0
		.amdhsa_wavefront_size32 1
		.amdhsa_uses_dynamic_stack 0
		.amdhsa_enable_private_segment 0
		.amdhsa_system_sgpr_workgroup_id_x 1
		.amdhsa_system_sgpr_workgroup_id_y 0
		.amdhsa_system_sgpr_workgroup_id_z 0
		.amdhsa_system_sgpr_workgroup_info 0
		.amdhsa_system_vgpr_workitem_id 0
		.amdhsa_next_free_vgpr 11
		.amdhsa_next_free_sgpr 30
		.amdhsa_named_barrier_count 0
		.amdhsa_reserve_vcc 1
		.amdhsa_float_round_mode_32 0
		.amdhsa_float_round_mode_16_64 0
		.amdhsa_float_denorm_mode_32 3
		.amdhsa_float_denorm_mode_16_64 3
		.amdhsa_fp16_overflow 0
		.amdhsa_memory_ordered 1
		.amdhsa_forward_progress 1
		.amdhsa_inst_pref_size 8
		.amdhsa_round_robin_scheduling 0
		.amdhsa_exception_fp_ieee_invalid_op 0
		.amdhsa_exception_fp_denorm_src 0
		.amdhsa_exception_fp_ieee_div_zero 0
		.amdhsa_exception_fp_ieee_overflow 0
		.amdhsa_exception_fp_ieee_underflow 0
		.amdhsa_exception_fp_ieee_inexact 0
		.amdhsa_exception_int_div_zero 0
	.end_amdhsa_kernel
	.section	.text._ZN9rocsparseL23check_matrix_csr_deviceILj256ELj256E21rocsparse_complex_numIdEiiEEvT3_S3_T2_PKT1_PKS4_PKS3_SB_21rocsparse_index_base_22rocsparse_matrix_type_20rocsparse_fill_mode_23rocsparse_storage_mode_P22rocsparse_data_status_,"axG",@progbits,_ZN9rocsparseL23check_matrix_csr_deviceILj256ELj256E21rocsparse_complex_numIdEiiEEvT3_S3_T2_PKT1_PKS4_PKS3_SB_21rocsparse_index_base_22rocsparse_matrix_type_20rocsparse_fill_mode_23rocsparse_storage_mode_P22rocsparse_data_status_,comdat
.Lfunc_end29:
	.size	_ZN9rocsparseL23check_matrix_csr_deviceILj256ELj256E21rocsparse_complex_numIdEiiEEvT3_S3_T2_PKT1_PKS4_PKS3_SB_21rocsparse_index_base_22rocsparse_matrix_type_20rocsparse_fill_mode_23rocsparse_storage_mode_P22rocsparse_data_status_, .Lfunc_end29-_ZN9rocsparseL23check_matrix_csr_deviceILj256ELj256E21rocsparse_complex_numIdEiiEEvT3_S3_T2_PKT1_PKS4_PKS3_SB_21rocsparse_index_base_22rocsparse_matrix_type_20rocsparse_fill_mode_23rocsparse_storage_mode_P22rocsparse_data_status_
                                        ; -- End function
	.set _ZN9rocsparseL23check_matrix_csr_deviceILj256ELj256E21rocsparse_complex_numIdEiiEEvT3_S3_T2_PKT1_PKS4_PKS3_SB_21rocsparse_index_base_22rocsparse_matrix_type_20rocsparse_fill_mode_23rocsparse_storage_mode_P22rocsparse_data_status_.num_vgpr, 11
	.set _ZN9rocsparseL23check_matrix_csr_deviceILj256ELj256E21rocsparse_complex_numIdEiiEEvT3_S3_T2_PKT1_PKS4_PKS3_SB_21rocsparse_index_base_22rocsparse_matrix_type_20rocsparse_fill_mode_23rocsparse_storage_mode_P22rocsparse_data_status_.num_agpr, 0
	.set _ZN9rocsparseL23check_matrix_csr_deviceILj256ELj256E21rocsparse_complex_numIdEiiEEvT3_S3_T2_PKT1_PKS4_PKS3_SB_21rocsparse_index_base_22rocsparse_matrix_type_20rocsparse_fill_mode_23rocsparse_storage_mode_P22rocsparse_data_status_.numbered_sgpr, 30
	.set _ZN9rocsparseL23check_matrix_csr_deviceILj256ELj256E21rocsparse_complex_numIdEiiEEvT3_S3_T2_PKT1_PKS4_PKS3_SB_21rocsparse_index_base_22rocsparse_matrix_type_20rocsparse_fill_mode_23rocsparse_storage_mode_P22rocsparse_data_status_.num_named_barrier, 0
	.set _ZN9rocsparseL23check_matrix_csr_deviceILj256ELj256E21rocsparse_complex_numIdEiiEEvT3_S3_T2_PKT1_PKS4_PKS3_SB_21rocsparse_index_base_22rocsparse_matrix_type_20rocsparse_fill_mode_23rocsparse_storage_mode_P22rocsparse_data_status_.private_seg_size, 0
	.set _ZN9rocsparseL23check_matrix_csr_deviceILj256ELj256E21rocsparse_complex_numIdEiiEEvT3_S3_T2_PKT1_PKS4_PKS3_SB_21rocsparse_index_base_22rocsparse_matrix_type_20rocsparse_fill_mode_23rocsparse_storage_mode_P22rocsparse_data_status_.uses_vcc, 1
	.set _ZN9rocsparseL23check_matrix_csr_deviceILj256ELj256E21rocsparse_complex_numIdEiiEEvT3_S3_T2_PKT1_PKS4_PKS3_SB_21rocsparse_index_base_22rocsparse_matrix_type_20rocsparse_fill_mode_23rocsparse_storage_mode_P22rocsparse_data_status_.uses_flat_scratch, 0
	.set _ZN9rocsparseL23check_matrix_csr_deviceILj256ELj256E21rocsparse_complex_numIdEiiEEvT3_S3_T2_PKT1_PKS4_PKS3_SB_21rocsparse_index_base_22rocsparse_matrix_type_20rocsparse_fill_mode_23rocsparse_storage_mode_P22rocsparse_data_status_.has_dyn_sized_stack, 0
	.set _ZN9rocsparseL23check_matrix_csr_deviceILj256ELj256E21rocsparse_complex_numIdEiiEEvT3_S3_T2_PKT1_PKS4_PKS3_SB_21rocsparse_index_base_22rocsparse_matrix_type_20rocsparse_fill_mode_23rocsparse_storage_mode_P22rocsparse_data_status_.has_recursion, 0
	.set _ZN9rocsparseL23check_matrix_csr_deviceILj256ELj256E21rocsparse_complex_numIdEiiEEvT3_S3_T2_PKT1_PKS4_PKS3_SB_21rocsparse_index_base_22rocsparse_matrix_type_20rocsparse_fill_mode_23rocsparse_storage_mode_P22rocsparse_data_status_.has_indirect_call, 0
	.section	.AMDGPU.csdata,"",@progbits
; Kernel info:
; codeLenInByte = 1024
; TotalNumSgprs: 32
; NumVgprs: 11
; ScratchSize: 0
; MemoryBound: 0
; FloatMode: 240
; IeeeMode: 1
; LDSByteSize: 0 bytes/workgroup (compile time only)
; SGPRBlocks: 0
; VGPRBlocks: 0
; NumSGPRsForWavesPerEU: 32
; NumVGPRsForWavesPerEU: 11
; NamedBarCnt: 0
; Occupancy: 16
; WaveLimiterHint : 0
; COMPUTE_PGM_RSRC2:SCRATCH_EN: 0
; COMPUTE_PGM_RSRC2:USER_SGPR: 2
; COMPUTE_PGM_RSRC2:TRAP_HANDLER: 0
; COMPUTE_PGM_RSRC2:TGID_X_EN: 1
; COMPUTE_PGM_RSRC2:TGID_Y_EN: 0
; COMPUTE_PGM_RSRC2:TGID_Z_EN: 0
; COMPUTE_PGM_RSRC2:TIDIG_COMP_CNT: 0
	.section	.text._ZN9rocsparseL19check_row_ptr_arrayILj256EliEEvT1_PKT0_P22rocsparse_data_status_,"axG",@progbits,_ZN9rocsparseL19check_row_ptr_arrayILj256EliEEvT1_PKT0_P22rocsparse_data_status_,comdat
	.globl	_ZN9rocsparseL19check_row_ptr_arrayILj256EliEEvT1_PKT0_P22rocsparse_data_status_ ; -- Begin function _ZN9rocsparseL19check_row_ptr_arrayILj256EliEEvT1_PKT0_P22rocsparse_data_status_
	.p2align	8
	.type	_ZN9rocsparseL19check_row_ptr_arrayILj256EliEEvT1_PKT0_P22rocsparse_data_status_,@function
_ZN9rocsparseL19check_row_ptr_arrayILj256EliEEvT1_PKT0_P22rocsparse_data_status_: ; @_ZN9rocsparseL19check_row_ptr_arrayILj256EliEEvT1_PKT0_P22rocsparse_data_status_
; %bb.0:
	s_load_b32 s2, s[0:1], 0x0
	s_bfe_u32 s3, ttmp6, 0x4000c
	s_and_b32 s4, ttmp6, 15
	s_add_co_i32 s3, s3, 1
	s_getreg_b32 s5, hwreg(HW_REG_IB_STS2, 6, 4)
	s_mul_i32 s3, ttmp9, s3
	v_mov_b32_e32 v1, 0
	s_add_co_i32 s4, s4, s3
	s_wait_kmcnt 0x0
	s_ashr_i32 s3, s2, 31
	s_cmp_eq_u32 s5, 0
	s_cselect_b32 s4, ttmp9, s4
	s_delay_alu instid0(SALU_CYCLE_1) | instskip(NEXT) | instid1(VALU_DEP_1)
	v_lshl_or_b32 v0, s4, 8, v0
	v_cmp_gt_i64_e32 vcc_lo, s[2:3], v[0:1]
	s_and_saveexec_b32 s2, vcc_lo
	s_cbranch_execz .LBB30_3
; %bb.1:
	s_load_b64 s[2:3], s[0:1], 0x8
	s_wait_kmcnt 0x0
	v_lshl_add_u64 v[0:1], v[0:1], 3, s[2:3]
	s_load_b64 s[2:3], s[2:3], 0x0
	global_load_b128 v[0:3], v[0:1], off
	s_wait_loadcnt 0x0
	s_wait_kmcnt 0x0
	v_max_i64 v[4:5], s[2:3], v[0:1]
	v_cmp_gt_i64_e32 vcc_lo, s[2:3], v[0:1]
	s_delay_alu instid0(VALU_DEP_2) | instskip(SKIP_1) | instid1(SALU_CYCLE_1)
	v_cmp_gt_i64_e64 s2, v[4:5], v[2:3]
	s_or_b32 s2, vcc_lo, s2
	s_and_b32 exec_lo, exec_lo, s2
	s_cbranch_execz .LBB30_3
; %bb.2:
	s_load_b64 s[0:1], s[0:1], 0x10
	v_dual_mov_b32 v0, 0 :: v_dual_mov_b32 v1, 3
	s_wait_kmcnt 0x0
	global_store_b32 v0, v1, s[0:1]
.LBB30_3:
	s_endpgm
	.section	.rodata,"a",@progbits
	.p2align	6, 0x0
	.amdhsa_kernel _ZN9rocsparseL19check_row_ptr_arrayILj256EliEEvT1_PKT0_P22rocsparse_data_status_
		.amdhsa_group_segment_fixed_size 0
		.amdhsa_private_segment_fixed_size 0
		.amdhsa_kernarg_size 24
		.amdhsa_user_sgpr_count 2
		.amdhsa_user_sgpr_dispatch_ptr 0
		.amdhsa_user_sgpr_queue_ptr 0
		.amdhsa_user_sgpr_kernarg_segment_ptr 1
		.amdhsa_user_sgpr_dispatch_id 0
		.amdhsa_user_sgpr_kernarg_preload_length 0
		.amdhsa_user_sgpr_kernarg_preload_offset 0
		.amdhsa_user_sgpr_private_segment_size 0
		.amdhsa_wavefront_size32 1
		.amdhsa_uses_dynamic_stack 0
		.amdhsa_enable_private_segment 0
		.amdhsa_system_sgpr_workgroup_id_x 1
		.amdhsa_system_sgpr_workgroup_id_y 0
		.amdhsa_system_sgpr_workgroup_id_z 0
		.amdhsa_system_sgpr_workgroup_info 0
		.amdhsa_system_vgpr_workitem_id 0
		.amdhsa_next_free_vgpr 6
		.amdhsa_next_free_sgpr 6
		.amdhsa_named_barrier_count 0
		.amdhsa_reserve_vcc 1
		.amdhsa_float_round_mode_32 0
		.amdhsa_float_round_mode_16_64 0
		.amdhsa_float_denorm_mode_32 3
		.amdhsa_float_denorm_mode_16_64 3
		.amdhsa_fp16_overflow 0
		.amdhsa_memory_ordered 1
		.amdhsa_forward_progress 1
		.amdhsa_inst_pref_size 2
		.amdhsa_round_robin_scheduling 0
		.amdhsa_exception_fp_ieee_invalid_op 0
		.amdhsa_exception_fp_denorm_src 0
		.amdhsa_exception_fp_ieee_div_zero 0
		.amdhsa_exception_fp_ieee_overflow 0
		.amdhsa_exception_fp_ieee_underflow 0
		.amdhsa_exception_fp_ieee_inexact 0
		.amdhsa_exception_int_div_zero 0
	.end_amdhsa_kernel
	.section	.text._ZN9rocsparseL19check_row_ptr_arrayILj256EliEEvT1_PKT0_P22rocsparse_data_status_,"axG",@progbits,_ZN9rocsparseL19check_row_ptr_arrayILj256EliEEvT1_PKT0_P22rocsparse_data_status_,comdat
.Lfunc_end30:
	.size	_ZN9rocsparseL19check_row_ptr_arrayILj256EliEEvT1_PKT0_P22rocsparse_data_status_, .Lfunc_end30-_ZN9rocsparseL19check_row_ptr_arrayILj256EliEEvT1_PKT0_P22rocsparse_data_status_
                                        ; -- End function
	.set _ZN9rocsparseL19check_row_ptr_arrayILj256EliEEvT1_PKT0_P22rocsparse_data_status_.num_vgpr, 6
	.set _ZN9rocsparseL19check_row_ptr_arrayILj256EliEEvT1_PKT0_P22rocsparse_data_status_.num_agpr, 0
	.set _ZN9rocsparseL19check_row_ptr_arrayILj256EliEEvT1_PKT0_P22rocsparse_data_status_.numbered_sgpr, 6
	.set _ZN9rocsparseL19check_row_ptr_arrayILj256EliEEvT1_PKT0_P22rocsparse_data_status_.num_named_barrier, 0
	.set _ZN9rocsparseL19check_row_ptr_arrayILj256EliEEvT1_PKT0_P22rocsparse_data_status_.private_seg_size, 0
	.set _ZN9rocsparseL19check_row_ptr_arrayILj256EliEEvT1_PKT0_P22rocsparse_data_status_.uses_vcc, 1
	.set _ZN9rocsparseL19check_row_ptr_arrayILj256EliEEvT1_PKT0_P22rocsparse_data_status_.uses_flat_scratch, 0
	.set _ZN9rocsparseL19check_row_ptr_arrayILj256EliEEvT1_PKT0_P22rocsparse_data_status_.has_dyn_sized_stack, 0
	.set _ZN9rocsparseL19check_row_ptr_arrayILj256EliEEvT1_PKT0_P22rocsparse_data_status_.has_recursion, 0
	.set _ZN9rocsparseL19check_row_ptr_arrayILj256EliEEvT1_PKT0_P22rocsparse_data_status_.has_indirect_call, 0
	.section	.AMDGPU.csdata,"",@progbits
; Kernel info:
; codeLenInByte = 200
; TotalNumSgprs: 8
; NumVgprs: 6
; ScratchSize: 0
; MemoryBound: 0
; FloatMode: 240
; IeeeMode: 1
; LDSByteSize: 0 bytes/workgroup (compile time only)
; SGPRBlocks: 0
; VGPRBlocks: 0
; NumSGPRsForWavesPerEU: 8
; NumVGPRsForWavesPerEU: 6
; NamedBarCnt: 0
; Occupancy: 16
; WaveLimiterHint : 0
; COMPUTE_PGM_RSRC2:SCRATCH_EN: 0
; COMPUTE_PGM_RSRC2:USER_SGPR: 2
; COMPUTE_PGM_RSRC2:TRAP_HANDLER: 0
; COMPUTE_PGM_RSRC2:TGID_X_EN: 1
; COMPUTE_PGM_RSRC2:TGID_Y_EN: 0
; COMPUTE_PGM_RSRC2:TGID_Z_EN: 0
; COMPUTE_PGM_RSRC2:TIDIG_COMP_CNT: 0
	.section	.text._ZN9rocsparseL20shift_offsets_kernelILj512EliEEvT1_PKT0_PS2_,"axG",@progbits,_ZN9rocsparseL20shift_offsets_kernelILj512EliEEvT1_PKT0_PS2_,comdat
	.globl	_ZN9rocsparseL20shift_offsets_kernelILj512EliEEvT1_PKT0_PS2_ ; -- Begin function _ZN9rocsparseL20shift_offsets_kernelILj512EliEEvT1_PKT0_PS2_
	.p2align	8
	.type	_ZN9rocsparseL20shift_offsets_kernelILj512EliEEvT1_PKT0_PS2_,@function
_ZN9rocsparseL20shift_offsets_kernelILj512EliEEvT1_PKT0_PS2_: ; @_ZN9rocsparseL20shift_offsets_kernelILj512EliEEvT1_PKT0_PS2_
; %bb.0:
	s_load_b32 s2, s[0:1], 0x0
	s_bfe_u32 s3, ttmp6, 0x4000c
	s_and_b32 s4, ttmp6, 15
	s_add_co_i32 s3, s3, 1
	s_getreg_b32 s5, hwreg(HW_REG_IB_STS2, 6, 4)
	s_mul_i32 s3, ttmp9, s3
	s_delay_alu instid0(SALU_CYCLE_1) | instskip(SKIP_2) | instid1(SALU_CYCLE_1)
	s_add_co_i32 s4, s4, s3
	s_cmp_eq_u32 s5, 0
	s_cselect_b32 s3, ttmp9, s4
	v_lshl_or_b32 v0, s3, 9, v0
	s_wait_kmcnt 0x0
	s_delay_alu instid0(VALU_DEP_1)
	v_cmp_gt_i32_e32 vcc_lo, s2, v0
	s_and_saveexec_b32 s2, vcc_lo
	s_cbranch_execz .LBB31_2
; %bb.1:
	s_load_b128 s[4:7], s[0:1], 0x8
	s_wait_kmcnt 0x0
	global_load_b64 v[2:3], v0, s[4:5] scale_offset
	s_load_b64 s[0:1], s[4:5], 0x0
	s_wait_loadcnt 0x0
	s_wait_kmcnt 0x0
	v_sub_nc_u64_e64 v[2:3], v[2:3], s[0:1]
	global_store_b64 v0, v[2:3], s[6:7] scale_offset
.LBB31_2:
	s_endpgm
	.section	.rodata,"a",@progbits
	.p2align	6, 0x0
	.amdhsa_kernel _ZN9rocsparseL20shift_offsets_kernelILj512EliEEvT1_PKT0_PS2_
		.amdhsa_group_segment_fixed_size 0
		.amdhsa_private_segment_fixed_size 0
		.amdhsa_kernarg_size 24
		.amdhsa_user_sgpr_count 2
		.amdhsa_user_sgpr_dispatch_ptr 0
		.amdhsa_user_sgpr_queue_ptr 0
		.amdhsa_user_sgpr_kernarg_segment_ptr 1
		.amdhsa_user_sgpr_dispatch_id 0
		.amdhsa_user_sgpr_kernarg_preload_length 0
		.amdhsa_user_sgpr_kernarg_preload_offset 0
		.amdhsa_user_sgpr_private_segment_size 0
		.amdhsa_wavefront_size32 1
		.amdhsa_uses_dynamic_stack 0
		.amdhsa_enable_private_segment 0
		.amdhsa_system_sgpr_workgroup_id_x 1
		.amdhsa_system_sgpr_workgroup_id_y 0
		.amdhsa_system_sgpr_workgroup_id_z 0
		.amdhsa_system_sgpr_workgroup_info 0
		.amdhsa_system_vgpr_workitem_id 0
		.amdhsa_next_free_vgpr 4
		.amdhsa_next_free_sgpr 8
		.amdhsa_named_barrier_count 0
		.amdhsa_reserve_vcc 1
		.amdhsa_float_round_mode_32 0
		.amdhsa_float_round_mode_16_64 0
		.amdhsa_float_denorm_mode_32 3
		.amdhsa_float_denorm_mode_16_64 3
		.amdhsa_fp16_overflow 0
		.amdhsa_memory_ordered 1
		.amdhsa_forward_progress 1
		.amdhsa_inst_pref_size 2
		.amdhsa_round_robin_scheduling 0
		.amdhsa_exception_fp_ieee_invalid_op 0
		.amdhsa_exception_fp_denorm_src 0
		.amdhsa_exception_fp_ieee_div_zero 0
		.amdhsa_exception_fp_ieee_overflow 0
		.amdhsa_exception_fp_ieee_underflow 0
		.amdhsa_exception_fp_ieee_inexact 0
		.amdhsa_exception_int_div_zero 0
	.end_amdhsa_kernel
	.section	.text._ZN9rocsparseL20shift_offsets_kernelILj512EliEEvT1_PKT0_PS2_,"axG",@progbits,_ZN9rocsparseL20shift_offsets_kernelILj512EliEEvT1_PKT0_PS2_,comdat
.Lfunc_end31:
	.size	_ZN9rocsparseL20shift_offsets_kernelILj512EliEEvT1_PKT0_PS2_, .Lfunc_end31-_ZN9rocsparseL20shift_offsets_kernelILj512EliEEvT1_PKT0_PS2_
                                        ; -- End function
	.set _ZN9rocsparseL20shift_offsets_kernelILj512EliEEvT1_PKT0_PS2_.num_vgpr, 4
	.set _ZN9rocsparseL20shift_offsets_kernelILj512EliEEvT1_PKT0_PS2_.num_agpr, 0
	.set _ZN9rocsparseL20shift_offsets_kernelILj512EliEEvT1_PKT0_PS2_.numbered_sgpr, 8
	.set _ZN9rocsparseL20shift_offsets_kernelILj512EliEEvT1_PKT0_PS2_.num_named_barrier, 0
	.set _ZN9rocsparseL20shift_offsets_kernelILj512EliEEvT1_PKT0_PS2_.private_seg_size, 0
	.set _ZN9rocsparseL20shift_offsets_kernelILj512EliEEvT1_PKT0_PS2_.uses_vcc, 1
	.set _ZN9rocsparseL20shift_offsets_kernelILj512EliEEvT1_PKT0_PS2_.uses_flat_scratch, 0
	.set _ZN9rocsparseL20shift_offsets_kernelILj512EliEEvT1_PKT0_PS2_.has_dyn_sized_stack, 0
	.set _ZN9rocsparseL20shift_offsets_kernelILj512EliEEvT1_PKT0_PS2_.has_recursion, 0
	.set _ZN9rocsparseL20shift_offsets_kernelILj512EliEEvT1_PKT0_PS2_.has_indirect_call, 0
	.section	.AMDGPU.csdata,"",@progbits
; Kernel info:
; codeLenInByte = 140
; TotalNumSgprs: 10
; NumVgprs: 4
; ScratchSize: 0
; MemoryBound: 0
; FloatMode: 240
; IeeeMode: 1
; LDSByteSize: 0 bytes/workgroup (compile time only)
; SGPRBlocks: 0
; VGPRBlocks: 0
; NumSGPRsForWavesPerEU: 10
; NumVGPRsForWavesPerEU: 4
; NamedBarCnt: 0
; Occupancy: 16
; WaveLimiterHint : 0
; COMPUTE_PGM_RSRC2:SCRATCH_EN: 0
; COMPUTE_PGM_RSRC2:USER_SGPR: 2
; COMPUTE_PGM_RSRC2:TRAP_HANDLER: 0
; COMPUTE_PGM_RSRC2:TGID_X_EN: 1
; COMPUTE_PGM_RSRC2:TGID_Y_EN: 0
; COMPUTE_PGM_RSRC2:TGID_Z_EN: 0
; COMPUTE_PGM_RSRC2:TIDIG_COMP_CNT: 0
	.section	.text._ZN9rocsparseL23check_matrix_csr_deviceILj256ELj4EfliEEvT3_S1_T2_PKT1_PKS2_PKS1_S9_21rocsparse_index_base_22rocsparse_matrix_type_20rocsparse_fill_mode_23rocsparse_storage_mode_P22rocsparse_data_status_,"axG",@progbits,_ZN9rocsparseL23check_matrix_csr_deviceILj256ELj4EfliEEvT3_S1_T2_PKT1_PKS2_PKS1_S9_21rocsparse_index_base_22rocsparse_matrix_type_20rocsparse_fill_mode_23rocsparse_storage_mode_P22rocsparse_data_status_,comdat
	.globl	_ZN9rocsparseL23check_matrix_csr_deviceILj256ELj4EfliEEvT3_S1_T2_PKT1_PKS2_PKS1_S9_21rocsparse_index_base_22rocsparse_matrix_type_20rocsparse_fill_mode_23rocsparse_storage_mode_P22rocsparse_data_status_ ; -- Begin function _ZN9rocsparseL23check_matrix_csr_deviceILj256ELj4EfliEEvT3_S1_T2_PKT1_PKS2_PKS1_S9_21rocsparse_index_base_22rocsparse_matrix_type_20rocsparse_fill_mode_23rocsparse_storage_mode_P22rocsparse_data_status_
	.p2align	8
	.type	_ZN9rocsparseL23check_matrix_csr_deviceILj256ELj4EfliEEvT3_S1_T2_PKT1_PKS2_PKS1_S9_21rocsparse_index_base_22rocsparse_matrix_type_20rocsparse_fill_mode_23rocsparse_storage_mode_P22rocsparse_data_status_,@function
_ZN9rocsparseL23check_matrix_csr_deviceILj256ELj4EfliEEvT3_S1_T2_PKT1_PKS2_PKS1_S9_21rocsparse_index_base_22rocsparse_matrix_type_20rocsparse_fill_mode_23rocsparse_storage_mode_P22rocsparse_data_status_: ; @_ZN9rocsparseL23check_matrix_csr_deviceILj256ELj4EfliEEvT3_S1_T2_PKT1_PKS2_PKS1_S9_21rocsparse_index_base_22rocsparse_matrix_type_20rocsparse_fill_mode_23rocsparse_storage_mode_P22rocsparse_data_status_
; %bb.0:
	s_bfe_u32 s2, ttmp6, 0x4000c
	s_load_b64 s[12:13], s[0:1], 0x0
	s_add_co_i32 s2, s2, 1
	s_and_b32 s3, ttmp6, 15
	s_mul_i32 s2, ttmp9, s2
	s_getreg_b32 s4, hwreg(HW_REG_IB_STS2, 6, 4)
	s_add_co_i32 s3, s3, s2
	s_cmp_eq_u32 s4, 0
	s_cselect_b32 s2, ttmp9, s3
	s_delay_alu instid0(SALU_CYCLE_1) | instskip(SKIP_1) | instid1(VALU_DEP_1)
	v_lshl_or_b32 v1, s2, 8, v0
	s_mov_b32 s2, exec_lo
	v_lshrrev_b32_e32 v2, 2, v1
	s_wait_kmcnt 0x0
	s_delay_alu instid0(VALU_DEP_1)
	v_cmpx_gt_i32_e64 s12, v2
	s_cbranch_execz .LBB32_31
; %bb.1:
	s_load_b64 s[2:3], s[0:1], 0x18
	v_dual_mov_b32 v3, 0 :: v_dual_mov_b32 v14, 3
	s_wait_kmcnt 0x0
	s_delay_alu instid0(VALU_DEP_1)
	v_lshl_add_u64 v[4:5], v[2:3], 3, s[2:3]
	s_load_b64 s[2:3], s[2:3], 0x0
	global_load_b128 v[8:11], v[4:5], off
	s_wait_loadcnt 0x0
	s_wait_kmcnt 0x0
	v_sub_nc_u64_e64 v[4:5], v[10:11], s[2:3]
	v_sub_nc_u64_e64 v[6:7], v[8:9], s[2:3]
	v_cmp_lt_i64_e64 s2, v[10:11], v[8:9]
	s_delay_alu instid0(VALU_DEP_3) | instskip(NEXT) | instid1(VALU_DEP_3)
	v_cmp_gt_i64_e32 vcc_lo, 0, v[4:5]
	v_cmp_lt_i64_e64 s3, -1, v[6:7]
	s_or_b32 s2, vcc_lo, s2
	s_delay_alu instid0(SALU_CYCLE_1) | instskip(SKIP_2) | instid1(SALU_CYCLE_1)
	s_xor_b32 s4, s2, -1
	s_mov_b32 s2, -1
	s_and_b32 s3, s3, s4
	s_and_saveexec_b32 s12, s3
	s_cbranch_execz .LBB32_29
; %bb.2:
	v_dual_mov_b32 v1, v3 :: v_dual_bitop2_b32 v0, 3, v0 bitop3:0x40
	v_mov_b32_e32 v14, 3
	s_mov_b32 s2, 0
	s_mov_b32 s14, exec_lo
	s_delay_alu instid0(VALU_DEP_2) | instskip(NEXT) | instid1(VALU_DEP_1)
	v_add_nc_u64_e32 v[0:1], v[6:7], v[0:1]
	v_cmpx_lt_u64_e64 v[0:1], v[4:5]
	s_cbranch_execz .LBB32_28
; %bb.3:
	s_clause 0x1
	s_load_b256 s[4:11], s[0:1], 0x20
	s_load_b64 s[2:3], s[0:1], 0x10
	v_lshlrev_b64_e32 v[12:13], 2, v[0:1]
	s_wait_kmcnt 0x0
	s_delay_alu instid0(VALU_DEP_1)
	v_add_nc_u64_e32 v[10:11], s[6:7], v[12:13]
	s_cmp_lg_u32 s9, 0
	v_add_nc_u64_e32 v[8:9], s[2:3], v[12:13]
	v_add_nc_u64_e32 v[12:13], s[4:5], v[12:13]
	s_cselect_b32 s6, -1, 0
	s_cmp_lg_u32 s10, 0
	s_mov_b32 s5, 0
	v_add_nc_u64_e32 v[10:11], -4, v[10:11]
	s_cselect_b32 s4, -1, 0
	s_cmp_lg_u32 s11, 0
                                        ; implicit-def: $sgpr9
                                        ; implicit-def: $sgpr10
                                        ; implicit-def: $sgpr11
	s_cselect_b32 s7, -1, 0
	s_branch .LBB32_10
.LBB32_4:                               ;   in Loop: Header=BB32_10 Depth=1
	s_or_b32 exec_lo, exec_lo, s3
	s_delay_alu instid0(SALU_CYCLE_1)
	s_or_not1_b32 s22, s2, exec_lo
	s_or_not1_b32 s2, s19, exec_lo
.LBB32_5:                               ;   in Loop: Header=BB32_10 Depth=1
	s_or_b32 exec_lo, exec_lo, s20
	s_delay_alu instid0(SALU_CYCLE_1)
	s_or_not1_b32 s3, s22, exec_lo
	s_or_not1_b32 s2, s2, exec_lo
.LBB32_6:                               ;   in Loop: Header=BB32_10 Depth=1
	s_or_b32 exec_lo, exec_lo, s18
	s_delay_alu instid0(SALU_CYCLE_1)
	s_or_not1_b32 s3, s3, exec_lo
	s_or_not1_b32 s2, s2, exec_lo
.LBB32_7:                               ;   in Loop: Header=BB32_10 Depth=1
	s_or_b32 exec_lo, exec_lo, s17
	s_delay_alu instid0(SALU_CYCLE_1)
	s_or_not1_b32 s3, s3, exec_lo
	s_or_not1_b32 s2, s2, exec_lo
.LBB32_8:                               ;   in Loop: Header=BB32_10 Depth=1
	s_or_b32 exec_lo, exec_lo, s16
	s_delay_alu instid0(SALU_CYCLE_1)
	s_and_not1_b32 s11, s11, exec_lo
	s_and_b32 s3, s3, exec_lo
	s_and_not1_b32 s10, s10, exec_lo
	s_and_b32 s2, s2, exec_lo
	s_or_b32 s11, s11, s3
	s_or_b32 s10, s10, s2
.LBB32_9:                               ;   in Loop: Header=BB32_10 Depth=1
	s_or_b32 exec_lo, exec_lo, s15
	s_delay_alu instid0(SALU_CYCLE_1) | instskip(NEXT) | instid1(SALU_CYCLE_1)
	s_and_b32 s2, exec_lo, s10
	s_or_b32 s5, s2, s5
	s_and_not1_b32 s2, s9, exec_lo
	s_and_b32 s3, s11, exec_lo
	s_delay_alu instid0(SALU_CYCLE_1)
	s_or_b32 s9, s2, s3
	s_and_not1_b32 exec_lo, exec_lo, s5
	s_cbranch_execz .LBB32_27
.LBB32_10:                              ; =>This Inner Loop Header: Depth=1
	global_load_b32 v3, v[12:13], off
	v_mov_b32_e32 v14, 4
	s_or_b32 s11, s11, exec_lo
	s_or_b32 s10, s10, exec_lo
	s_wait_loadcnt 0x0
	v_subrev_nc_u32_e32 v15, s8, v3
	s_delay_alu instid0(VALU_DEP_1) | instskip(SKIP_2) | instid1(SALU_CYCLE_1)
	v_cmp_lt_i32_e32 vcc_lo, -1, v15
	v_cmp_gt_i32_e64 s2, s13, v15
	s_and_b32 s2, vcc_lo, s2
	s_and_saveexec_b32 s15, s2
	s_cbranch_execz .LBB32_9
; %bb.11:                               ;   in Loop: Header=BB32_10 Depth=1
	v_cmp_le_i64_e64 s19, v[0:1], v[6:7]
	v_mov_b32_e32 v14, 4
	s_mov_b32 s16, exec_lo
	s_mov_b32 s17, s19
	v_cmpx_gt_i64_e64 v[0:1], v[6:7]
	s_cbranch_execz .LBB32_13
; %bb.12:                               ;   in Loop: Header=BB32_10 Depth=1
	global_load_b64 v[16:17], v[10:11], off
	s_wait_loadcnt 0x0
	v_subrev_nc_u32_e32 v14, s8, v16
	v_cmp_ne_u32_e64 s3, v17, v16
	s_delay_alu instid0(VALU_DEP_2) | instskip(SKIP_3) | instid1(SALU_CYCLE_1)
	v_cmp_lt_i32_e32 vcc_lo, -1, v14
	v_cmp_gt_i32_e64 s2, s13, v14
	v_mov_b32_e32 v14, 5
	s_and_b32 s2, vcc_lo, s2
	s_xor_b32 s2, s2, -1
	s_delay_alu instid0(SALU_CYCLE_1) | instskip(SKIP_2) | instid1(SALU_CYCLE_1)
	s_or_b32 s2, s3, s2
	s_and_not1_b32 s3, s19, exec_lo
	s_and_b32 s2, s2, exec_lo
	s_or_b32 s17, s3, s2
.LBB32_13:                              ;   in Loop: Header=BB32_10 Depth=1
	s_or_b32 exec_lo, exec_lo, s16
	s_mov_b32 s2, -1
	s_mov_b32 s3, -1
	s_and_saveexec_b32 s16, s17
	s_cbranch_execz .LBB32_8
; %bb.14:                               ;   in Loop: Header=BB32_10 Depth=1
	global_load_b32 v16, v[8:9], off
	v_mov_b32_e32 v14, 1
	s_mov_b32 s17, exec_lo
	s_wait_loadcnt 0x0
	v_cmpx_neq_f32_e32 0x7f800000, v16
	s_cbranch_execz .LBB32_7
; %bb.15:                               ;   in Loop: Header=BB32_10 Depth=1
	v_mov_b32_e32 v14, 2
	s_mov_b32 s18, exec_lo
	v_cmpx_o_f32_e32 v16, v16
	s_cbranch_execz .LBB32_6
; %bb.16:                               ;   in Loop: Header=BB32_10 Depth=1
	s_and_b32 vcc_lo, exec_lo, s6
	s_cbranch_vccz .LBB32_19
; %bb.17:                               ;   in Loop: Header=BB32_10 Depth=1
	s_and_b32 vcc_lo, exec_lo, s4
	s_cbranch_vccz .LBB32_20
; %bb.18:                               ;   in Loop: Header=BB32_10 Depth=1
	v_cmp_le_i32_e32 vcc_lo, v2, v15
	s_mov_b32 s3, 7
	s_and_b32 s21, vcc_lo, exec_lo
	s_cbranch_execz .LBB32_21
	s_branch .LBB32_22
.LBB32_19:                              ;   in Loop: Header=BB32_10 Depth=1
	s_mov_b32 s3, 2
	s_mov_b32 s21, -1
	s_branch .LBB32_22
.LBB32_20:                              ;   in Loop: Header=BB32_10 Depth=1
	s_mov_b32 s21, 0
	s_mov_b32 s3, 2
.LBB32_21:                              ;   in Loop: Header=BB32_10 Depth=1
	v_cmp_ge_i32_e32 vcc_lo, v2, v15
	s_and_not1_b32 s20, s21, exec_lo
	s_mov_b32 s3, 7
	s_and_b32 s21, vcc_lo, exec_lo
	s_delay_alu instid0(SALU_CYCLE_1)
	s_or_b32 s21, s20, s21
.LBB32_22:                              ;   in Loop: Header=BB32_10 Depth=1
	v_mov_b32_e32 v14, s3
	s_mov_b32 s22, -1
	s_and_saveexec_b32 s20, s21
	s_cbranch_execz .LBB32_5
; %bb.23:                               ;   in Loop: Header=BB32_10 Depth=1
	v_mov_b32_e32 v14, s3
	s_nor_b32 s2, s7, s19
	s_mov_b32 s19, -1
	s_and_saveexec_b32 s21, s2
	s_cbranch_execz .LBB32_25
; %bb.24:                               ;   in Loop: Header=BB32_10 Depth=1
	global_load_b32 v14, v[12:13], off offset:-4
	s_wait_loadcnt 0x0
	v_subrev_nc_u32_e32 v15, s8, v14
	v_cmp_gt_i32_e64 s3, v3, v14
	v_mov_b32_e32 v14, 6
	s_delay_alu instid0(VALU_DEP_3) | instskip(SKIP_2) | instid1(SALU_CYCLE_1)
	v_cmp_lt_i32_e32 vcc_lo, -1, v15
	v_cmp_gt_i32_e64 s2, s13, v15
	s_and_b32 s2, vcc_lo, s2
	s_xor_b32 s2, s2, -1
	s_delay_alu instid0(SALU_CYCLE_1) | instskip(NEXT) | instid1(SALU_CYCLE_1)
	s_or_b32 s2, s3, s2
	s_or_not1_b32 s22, s2, exec_lo
.LBB32_25:                              ;   in Loop: Header=BB32_10 Depth=1
	s_or_b32 exec_lo, exec_lo, s21
	s_mov_b32 s2, -1
	s_and_saveexec_b32 s3, s22
	s_cbranch_execz .LBB32_4
; %bb.26:                               ;   in Loop: Header=BB32_10 Depth=1
	v_add_nc_u64_e32 v[0:1], 4, v[0:1]
	v_add_nc_u64_e32 v[10:11], 16, v[10:11]
	;; [unrolled: 1-line block ×4, first 2 shown]
	s_xor_b32 s2, exec_lo, -1
	s_delay_alu instid0(VALU_DEP_4)
	v_cmp_ge_i64_e32 vcc_lo, v[0:1], v[4:5]
	s_or_not1_b32 s19, vcc_lo, exec_lo
	s_branch .LBB32_4
.LBB32_27:
	s_or_b32 exec_lo, exec_lo, s5
	s_delay_alu instid0(SALU_CYCLE_1)
	s_and_b32 s2, s9, exec_lo
.LBB32_28:
	s_or_b32 exec_lo, exec_lo, s14
	s_delay_alu instid0(SALU_CYCLE_1)
	s_or_not1_b32 s2, s2, exec_lo
.LBB32_29:
	s_or_b32 exec_lo, exec_lo, s12
	s_delay_alu instid0(SALU_CYCLE_1)
	s_and_b32 exec_lo, exec_lo, s2
	s_cbranch_execz .LBB32_31
; %bb.30:
	s_load_b64 s[0:1], s[0:1], 0x40
	v_mov_b32_e32 v0, 0
	s_wait_kmcnt 0x0
	global_store_b32 v0, v14, s[0:1]
.LBB32_31:
	s_endpgm
	.section	.rodata,"a",@progbits
	.p2align	6, 0x0
	.amdhsa_kernel _ZN9rocsparseL23check_matrix_csr_deviceILj256ELj4EfliEEvT3_S1_T2_PKT1_PKS2_PKS1_S9_21rocsparse_index_base_22rocsparse_matrix_type_20rocsparse_fill_mode_23rocsparse_storage_mode_P22rocsparse_data_status_
		.amdhsa_group_segment_fixed_size 0
		.amdhsa_private_segment_fixed_size 0
		.amdhsa_kernarg_size 72
		.amdhsa_user_sgpr_count 2
		.amdhsa_user_sgpr_dispatch_ptr 0
		.amdhsa_user_sgpr_queue_ptr 0
		.amdhsa_user_sgpr_kernarg_segment_ptr 1
		.amdhsa_user_sgpr_dispatch_id 0
		.amdhsa_user_sgpr_kernarg_preload_length 0
		.amdhsa_user_sgpr_kernarg_preload_offset 0
		.amdhsa_user_sgpr_private_segment_size 0
		.amdhsa_wavefront_size32 1
		.amdhsa_uses_dynamic_stack 0
		.amdhsa_enable_private_segment 0
		.amdhsa_system_sgpr_workgroup_id_x 1
		.amdhsa_system_sgpr_workgroup_id_y 0
		.amdhsa_system_sgpr_workgroup_id_z 0
		.amdhsa_system_sgpr_workgroup_info 0
		.amdhsa_system_vgpr_workitem_id 0
		.amdhsa_next_free_vgpr 18
		.amdhsa_next_free_sgpr 23
		.amdhsa_named_barrier_count 0
		.amdhsa_reserve_vcc 1
		.amdhsa_float_round_mode_32 0
		.amdhsa_float_round_mode_16_64 0
		.amdhsa_float_denorm_mode_32 3
		.amdhsa_float_denorm_mode_16_64 3
		.amdhsa_fp16_overflow 0
		.amdhsa_memory_ordered 1
		.amdhsa_forward_progress 1
		.amdhsa_inst_pref_size 8
		.amdhsa_round_robin_scheduling 0
		.amdhsa_exception_fp_ieee_invalid_op 0
		.amdhsa_exception_fp_denorm_src 0
		.amdhsa_exception_fp_ieee_div_zero 0
		.amdhsa_exception_fp_ieee_overflow 0
		.amdhsa_exception_fp_ieee_underflow 0
		.amdhsa_exception_fp_ieee_inexact 0
		.amdhsa_exception_int_div_zero 0
	.end_amdhsa_kernel
	.section	.text._ZN9rocsparseL23check_matrix_csr_deviceILj256ELj4EfliEEvT3_S1_T2_PKT1_PKS2_PKS1_S9_21rocsparse_index_base_22rocsparse_matrix_type_20rocsparse_fill_mode_23rocsparse_storage_mode_P22rocsparse_data_status_,"axG",@progbits,_ZN9rocsparseL23check_matrix_csr_deviceILj256ELj4EfliEEvT3_S1_T2_PKT1_PKS2_PKS1_S9_21rocsparse_index_base_22rocsparse_matrix_type_20rocsparse_fill_mode_23rocsparse_storage_mode_P22rocsparse_data_status_,comdat
.Lfunc_end32:
	.size	_ZN9rocsparseL23check_matrix_csr_deviceILj256ELj4EfliEEvT3_S1_T2_PKT1_PKS2_PKS1_S9_21rocsparse_index_base_22rocsparse_matrix_type_20rocsparse_fill_mode_23rocsparse_storage_mode_P22rocsparse_data_status_, .Lfunc_end32-_ZN9rocsparseL23check_matrix_csr_deviceILj256ELj4EfliEEvT3_S1_T2_PKT1_PKS2_PKS1_S9_21rocsparse_index_base_22rocsparse_matrix_type_20rocsparse_fill_mode_23rocsparse_storage_mode_P22rocsparse_data_status_
                                        ; -- End function
	.set _ZN9rocsparseL23check_matrix_csr_deviceILj256ELj4EfliEEvT3_S1_T2_PKT1_PKS2_PKS1_S9_21rocsparse_index_base_22rocsparse_matrix_type_20rocsparse_fill_mode_23rocsparse_storage_mode_P22rocsparse_data_status_.num_vgpr, 18
	.set _ZN9rocsparseL23check_matrix_csr_deviceILj256ELj4EfliEEvT3_S1_T2_PKT1_PKS2_PKS1_S9_21rocsparse_index_base_22rocsparse_matrix_type_20rocsparse_fill_mode_23rocsparse_storage_mode_P22rocsparse_data_status_.num_agpr, 0
	.set _ZN9rocsparseL23check_matrix_csr_deviceILj256ELj4EfliEEvT3_S1_T2_PKT1_PKS2_PKS1_S9_21rocsparse_index_base_22rocsparse_matrix_type_20rocsparse_fill_mode_23rocsparse_storage_mode_P22rocsparse_data_status_.numbered_sgpr, 23
	.set _ZN9rocsparseL23check_matrix_csr_deviceILj256ELj4EfliEEvT3_S1_T2_PKT1_PKS2_PKS1_S9_21rocsparse_index_base_22rocsparse_matrix_type_20rocsparse_fill_mode_23rocsparse_storage_mode_P22rocsparse_data_status_.num_named_barrier, 0
	.set _ZN9rocsparseL23check_matrix_csr_deviceILj256ELj4EfliEEvT3_S1_T2_PKT1_PKS2_PKS1_S9_21rocsparse_index_base_22rocsparse_matrix_type_20rocsparse_fill_mode_23rocsparse_storage_mode_P22rocsparse_data_status_.private_seg_size, 0
	.set _ZN9rocsparseL23check_matrix_csr_deviceILj256ELj4EfliEEvT3_S1_T2_PKT1_PKS2_PKS1_S9_21rocsparse_index_base_22rocsparse_matrix_type_20rocsparse_fill_mode_23rocsparse_storage_mode_P22rocsparse_data_status_.uses_vcc, 1
	.set _ZN9rocsparseL23check_matrix_csr_deviceILj256ELj4EfliEEvT3_S1_T2_PKT1_PKS2_PKS1_S9_21rocsparse_index_base_22rocsparse_matrix_type_20rocsparse_fill_mode_23rocsparse_storage_mode_P22rocsparse_data_status_.uses_flat_scratch, 0
	.set _ZN9rocsparseL23check_matrix_csr_deviceILj256ELj4EfliEEvT3_S1_T2_PKT1_PKS2_PKS1_S9_21rocsparse_index_base_22rocsparse_matrix_type_20rocsparse_fill_mode_23rocsparse_storage_mode_P22rocsparse_data_status_.has_dyn_sized_stack, 0
	.set _ZN9rocsparseL23check_matrix_csr_deviceILj256ELj4EfliEEvT3_S1_T2_PKT1_PKS2_PKS1_S9_21rocsparse_index_base_22rocsparse_matrix_type_20rocsparse_fill_mode_23rocsparse_storage_mode_P22rocsparse_data_status_.has_recursion, 0
	.set _ZN9rocsparseL23check_matrix_csr_deviceILj256ELj4EfliEEvT3_S1_T2_PKT1_PKS2_PKS1_S9_21rocsparse_index_base_22rocsparse_matrix_type_20rocsparse_fill_mode_23rocsparse_storage_mode_P22rocsparse_data_status_.has_indirect_call, 0
	.section	.AMDGPU.csdata,"",@progbits
; Kernel info:
; codeLenInByte = 1020
; TotalNumSgprs: 25
; NumVgprs: 18
; ScratchSize: 0
; MemoryBound: 0
; FloatMode: 240
; IeeeMode: 1
; LDSByteSize: 0 bytes/workgroup (compile time only)
; SGPRBlocks: 0
; VGPRBlocks: 1
; NumSGPRsForWavesPerEU: 25
; NumVGPRsForWavesPerEU: 18
; NamedBarCnt: 0
; Occupancy: 16
; WaveLimiterHint : 0
; COMPUTE_PGM_RSRC2:SCRATCH_EN: 0
; COMPUTE_PGM_RSRC2:USER_SGPR: 2
; COMPUTE_PGM_RSRC2:TRAP_HANDLER: 0
; COMPUTE_PGM_RSRC2:TGID_X_EN: 1
; COMPUTE_PGM_RSRC2:TGID_Y_EN: 0
; COMPUTE_PGM_RSRC2:TGID_Z_EN: 0
; COMPUTE_PGM_RSRC2:TIDIG_COMP_CNT: 0
	.section	.text._ZN9rocsparseL23check_matrix_csr_deviceILj256ELj8EfliEEvT3_S1_T2_PKT1_PKS2_PKS1_S9_21rocsparse_index_base_22rocsparse_matrix_type_20rocsparse_fill_mode_23rocsparse_storage_mode_P22rocsparse_data_status_,"axG",@progbits,_ZN9rocsparseL23check_matrix_csr_deviceILj256ELj8EfliEEvT3_S1_T2_PKT1_PKS2_PKS1_S9_21rocsparse_index_base_22rocsparse_matrix_type_20rocsparse_fill_mode_23rocsparse_storage_mode_P22rocsparse_data_status_,comdat
	.globl	_ZN9rocsparseL23check_matrix_csr_deviceILj256ELj8EfliEEvT3_S1_T2_PKT1_PKS2_PKS1_S9_21rocsparse_index_base_22rocsparse_matrix_type_20rocsparse_fill_mode_23rocsparse_storage_mode_P22rocsparse_data_status_ ; -- Begin function _ZN9rocsparseL23check_matrix_csr_deviceILj256ELj8EfliEEvT3_S1_T2_PKT1_PKS2_PKS1_S9_21rocsparse_index_base_22rocsparse_matrix_type_20rocsparse_fill_mode_23rocsparse_storage_mode_P22rocsparse_data_status_
	.p2align	8
	.type	_ZN9rocsparseL23check_matrix_csr_deviceILj256ELj8EfliEEvT3_S1_T2_PKT1_PKS2_PKS1_S9_21rocsparse_index_base_22rocsparse_matrix_type_20rocsparse_fill_mode_23rocsparse_storage_mode_P22rocsparse_data_status_,@function
_ZN9rocsparseL23check_matrix_csr_deviceILj256ELj8EfliEEvT3_S1_T2_PKT1_PKS2_PKS1_S9_21rocsparse_index_base_22rocsparse_matrix_type_20rocsparse_fill_mode_23rocsparse_storage_mode_P22rocsparse_data_status_: ; @_ZN9rocsparseL23check_matrix_csr_deviceILj256ELj8EfliEEvT3_S1_T2_PKT1_PKS2_PKS1_S9_21rocsparse_index_base_22rocsparse_matrix_type_20rocsparse_fill_mode_23rocsparse_storage_mode_P22rocsparse_data_status_
; %bb.0:
	s_bfe_u32 s2, ttmp6, 0x4000c
	s_load_b64 s[12:13], s[0:1], 0x0
	s_add_co_i32 s2, s2, 1
	s_and_b32 s3, ttmp6, 15
	s_mul_i32 s2, ttmp9, s2
	s_getreg_b32 s4, hwreg(HW_REG_IB_STS2, 6, 4)
	s_add_co_i32 s3, s3, s2
	s_cmp_eq_u32 s4, 0
	s_cselect_b32 s2, ttmp9, s3
	s_delay_alu instid0(SALU_CYCLE_1) | instskip(SKIP_1) | instid1(VALU_DEP_1)
	v_lshl_or_b32 v1, s2, 8, v0
	s_mov_b32 s2, exec_lo
	v_lshrrev_b32_e32 v12, 3, v1
	s_wait_kmcnt 0x0
	s_delay_alu instid0(VALU_DEP_1)
	v_cmpx_gt_i32_e64 s12, v12
	s_cbranch_execz .LBB33_31
; %bb.1:
	s_load_b64 s[2:3], s[0:1], 0x18
	v_dual_lshlrev_b32 v1, 3, v12 :: v_dual_mov_b32 v13, 3
	s_wait_kmcnt 0x0
	global_load_b128 v[6:9], v1, s[2:3]
	s_wait_xcnt 0x0
	s_load_b64 s[2:3], s[2:3], 0x0
	s_wait_loadcnt 0x0
	s_wait_kmcnt 0x0
	v_sub_nc_u64_e64 v[2:3], v[8:9], s[2:3]
	v_sub_nc_u64_e64 v[4:5], v[6:7], s[2:3]
	v_cmp_lt_i64_e64 s2, v[8:9], v[6:7]
	s_delay_alu instid0(VALU_DEP_3) | instskip(NEXT) | instid1(VALU_DEP_3)
	v_cmp_gt_i64_e32 vcc_lo, 0, v[2:3]
	v_cmp_lt_i64_e64 s3, -1, v[4:5]
	s_or_b32 s2, vcc_lo, s2
	s_delay_alu instid0(SALU_CYCLE_1) | instskip(SKIP_2) | instid1(SALU_CYCLE_1)
	s_xor_b32 s4, s2, -1
	s_mov_b32 s2, -1
	s_and_b32 s3, s3, s4
	s_and_saveexec_b32 s12, s3
	s_cbranch_execz .LBB33_29
; %bb.2:
	v_dual_mov_b32 v1, 0 :: v_dual_bitop2_b32 v0, 7, v0 bitop3:0x40
	v_mov_b32_e32 v13, 3
	s_mov_b32 s2, 0
	s_mov_b32 s14, exec_lo
	s_delay_alu instid0(VALU_DEP_2) | instskip(NEXT) | instid1(VALU_DEP_1)
	v_add_nc_u64_e32 v[0:1], v[4:5], v[0:1]
	v_cmpx_lt_u64_e64 v[0:1], v[2:3]
	s_cbranch_execz .LBB33_28
; %bb.3:
	s_clause 0x1
	s_load_b256 s[4:11], s[0:1], 0x20
	s_load_b64 s[2:3], s[0:1], 0x10
	v_lshlrev_b64_e32 v[10:11], 2, v[0:1]
	s_wait_kmcnt 0x0
	s_delay_alu instid0(VALU_DEP_1)
	v_add_nc_u64_e32 v[8:9], s[6:7], v[10:11]
	s_cmp_lg_u32 s9, 0
	v_add_nc_u64_e32 v[6:7], s[2:3], v[10:11]
	v_add_nc_u64_e32 v[10:11], s[4:5], v[10:11]
	s_cselect_b32 s6, -1, 0
	s_cmp_lg_u32 s10, 0
	s_mov_b32 s5, 0
	v_add_nc_u64_e32 v[8:9], -4, v[8:9]
	s_cselect_b32 s4, -1, 0
	s_cmp_lg_u32 s11, 0
                                        ; implicit-def: $sgpr9
                                        ; implicit-def: $sgpr10
                                        ; implicit-def: $sgpr11
	s_cselect_b32 s7, -1, 0
	s_branch .LBB33_10
.LBB33_4:                               ;   in Loop: Header=BB33_10 Depth=1
	s_or_b32 exec_lo, exec_lo, s3
	s_delay_alu instid0(SALU_CYCLE_1)
	s_or_not1_b32 s22, s2, exec_lo
	s_or_not1_b32 s2, s19, exec_lo
.LBB33_5:                               ;   in Loop: Header=BB33_10 Depth=1
	s_or_b32 exec_lo, exec_lo, s20
	s_delay_alu instid0(SALU_CYCLE_1)
	s_or_not1_b32 s3, s22, exec_lo
	s_or_not1_b32 s2, s2, exec_lo
.LBB33_6:                               ;   in Loop: Header=BB33_10 Depth=1
	s_or_b32 exec_lo, exec_lo, s18
	s_delay_alu instid0(SALU_CYCLE_1)
	s_or_not1_b32 s3, s3, exec_lo
	s_or_not1_b32 s2, s2, exec_lo
.LBB33_7:                               ;   in Loop: Header=BB33_10 Depth=1
	s_or_b32 exec_lo, exec_lo, s17
	s_delay_alu instid0(SALU_CYCLE_1)
	s_or_not1_b32 s3, s3, exec_lo
	s_or_not1_b32 s2, s2, exec_lo
.LBB33_8:                               ;   in Loop: Header=BB33_10 Depth=1
	s_or_b32 exec_lo, exec_lo, s16
	s_delay_alu instid0(SALU_CYCLE_1)
	s_and_not1_b32 s11, s11, exec_lo
	s_and_b32 s3, s3, exec_lo
	s_and_not1_b32 s10, s10, exec_lo
	s_and_b32 s2, s2, exec_lo
	s_or_b32 s11, s11, s3
	s_or_b32 s10, s10, s2
.LBB33_9:                               ;   in Loop: Header=BB33_10 Depth=1
	s_or_b32 exec_lo, exec_lo, s15
	s_delay_alu instid0(SALU_CYCLE_1) | instskip(NEXT) | instid1(SALU_CYCLE_1)
	s_and_b32 s2, exec_lo, s10
	s_or_b32 s5, s2, s5
	s_and_not1_b32 s2, s9, exec_lo
	s_and_b32 s3, s11, exec_lo
	s_delay_alu instid0(SALU_CYCLE_1)
	s_or_b32 s9, s2, s3
	s_and_not1_b32 exec_lo, exec_lo, s5
	s_cbranch_execz .LBB33_27
.LBB33_10:                              ; =>This Inner Loop Header: Depth=1
	global_load_b32 v14, v[10:11], off
	v_mov_b32_e32 v13, 4
	s_or_b32 s11, s11, exec_lo
	s_or_b32 s10, s10, exec_lo
	s_wait_loadcnt 0x0
	v_subrev_nc_u32_e32 v15, s8, v14
	s_delay_alu instid0(VALU_DEP_1) | instskip(SKIP_2) | instid1(SALU_CYCLE_1)
	v_cmp_lt_i32_e32 vcc_lo, -1, v15
	v_cmp_gt_i32_e64 s2, s13, v15
	s_and_b32 s2, vcc_lo, s2
	s_and_saveexec_b32 s15, s2
	s_cbranch_execz .LBB33_9
; %bb.11:                               ;   in Loop: Header=BB33_10 Depth=1
	v_cmp_le_i64_e64 s19, v[0:1], v[4:5]
	v_mov_b32_e32 v13, 4
	s_mov_b32 s16, exec_lo
	s_mov_b32 s17, s19
	v_cmpx_gt_i64_e64 v[0:1], v[4:5]
	s_cbranch_execz .LBB33_13
; %bb.12:                               ;   in Loop: Header=BB33_10 Depth=1
	global_load_b64 v[16:17], v[8:9], off
	s_wait_loadcnt 0x0
	v_subrev_nc_u32_e32 v13, s8, v16
	v_cmp_ne_u32_e64 s3, v17, v16
	s_delay_alu instid0(VALU_DEP_2) | instskip(SKIP_3) | instid1(SALU_CYCLE_1)
	v_cmp_lt_i32_e32 vcc_lo, -1, v13
	v_cmp_gt_i32_e64 s2, s13, v13
	v_mov_b32_e32 v13, 5
	s_and_b32 s2, vcc_lo, s2
	s_xor_b32 s2, s2, -1
	s_delay_alu instid0(SALU_CYCLE_1) | instskip(SKIP_2) | instid1(SALU_CYCLE_1)
	s_or_b32 s2, s3, s2
	s_and_not1_b32 s3, s19, exec_lo
	s_and_b32 s2, s2, exec_lo
	s_or_b32 s17, s3, s2
.LBB33_13:                              ;   in Loop: Header=BB33_10 Depth=1
	s_or_b32 exec_lo, exec_lo, s16
	s_mov_b32 s2, -1
	s_mov_b32 s3, -1
	s_and_saveexec_b32 s16, s17
	s_cbranch_execz .LBB33_8
; %bb.14:                               ;   in Loop: Header=BB33_10 Depth=1
	global_load_b32 v16, v[6:7], off
	v_mov_b32_e32 v13, 1
	s_mov_b32 s17, exec_lo
	s_wait_loadcnt 0x0
	v_cmpx_neq_f32_e32 0x7f800000, v16
	s_cbranch_execz .LBB33_7
; %bb.15:                               ;   in Loop: Header=BB33_10 Depth=1
	v_mov_b32_e32 v13, 2
	s_mov_b32 s18, exec_lo
	v_cmpx_o_f32_e32 v16, v16
	s_cbranch_execz .LBB33_6
; %bb.16:                               ;   in Loop: Header=BB33_10 Depth=1
	s_and_b32 vcc_lo, exec_lo, s6
	s_cbranch_vccz .LBB33_19
; %bb.17:                               ;   in Loop: Header=BB33_10 Depth=1
	s_and_b32 vcc_lo, exec_lo, s4
	s_cbranch_vccz .LBB33_20
; %bb.18:                               ;   in Loop: Header=BB33_10 Depth=1
	v_cmp_le_i32_e32 vcc_lo, v12, v15
	s_mov_b32 s3, 7
	s_and_b32 s21, vcc_lo, exec_lo
	s_cbranch_execz .LBB33_21
	s_branch .LBB33_22
.LBB33_19:                              ;   in Loop: Header=BB33_10 Depth=1
	s_mov_b32 s3, 2
	s_mov_b32 s21, -1
	s_branch .LBB33_22
.LBB33_20:                              ;   in Loop: Header=BB33_10 Depth=1
	s_mov_b32 s21, 0
	s_mov_b32 s3, 2
.LBB33_21:                              ;   in Loop: Header=BB33_10 Depth=1
	v_cmp_ge_i32_e32 vcc_lo, v12, v15
	s_and_not1_b32 s20, s21, exec_lo
	s_mov_b32 s3, 7
	s_and_b32 s21, vcc_lo, exec_lo
	s_delay_alu instid0(SALU_CYCLE_1)
	s_or_b32 s21, s20, s21
.LBB33_22:                              ;   in Loop: Header=BB33_10 Depth=1
	v_mov_b32_e32 v13, s3
	s_mov_b32 s22, -1
	s_and_saveexec_b32 s20, s21
	s_cbranch_execz .LBB33_5
; %bb.23:                               ;   in Loop: Header=BB33_10 Depth=1
	v_mov_b32_e32 v13, s3
	s_nor_b32 s2, s7, s19
	s_mov_b32 s19, -1
	s_and_saveexec_b32 s21, s2
	s_cbranch_execz .LBB33_25
; %bb.24:                               ;   in Loop: Header=BB33_10 Depth=1
	global_load_b32 v13, v[10:11], off offset:-4
	s_wait_loadcnt 0x0
	v_subrev_nc_u32_e32 v15, s8, v13
	v_cmp_gt_i32_e64 s3, v14, v13
	v_mov_b32_e32 v13, 6
	s_delay_alu instid0(VALU_DEP_3) | instskip(SKIP_2) | instid1(SALU_CYCLE_1)
	v_cmp_lt_i32_e32 vcc_lo, -1, v15
	v_cmp_gt_i32_e64 s2, s13, v15
	s_and_b32 s2, vcc_lo, s2
	s_xor_b32 s2, s2, -1
	s_delay_alu instid0(SALU_CYCLE_1) | instskip(NEXT) | instid1(SALU_CYCLE_1)
	s_or_b32 s2, s3, s2
	s_or_not1_b32 s22, s2, exec_lo
.LBB33_25:                              ;   in Loop: Header=BB33_10 Depth=1
	s_or_b32 exec_lo, exec_lo, s21
	s_mov_b32 s2, -1
	s_and_saveexec_b32 s3, s22
	s_cbranch_execz .LBB33_4
; %bb.26:                               ;   in Loop: Header=BB33_10 Depth=1
	v_add_nc_u64_e32 v[0:1], 8, v[0:1]
	v_add_nc_u64_e32 v[8:9], 32, v[8:9]
	;; [unrolled: 1-line block ×4, first 2 shown]
	s_xor_b32 s2, exec_lo, -1
	s_delay_alu instid0(VALU_DEP_4)
	v_cmp_ge_i64_e32 vcc_lo, v[0:1], v[2:3]
	s_or_not1_b32 s19, vcc_lo, exec_lo
	s_branch .LBB33_4
.LBB33_27:
	s_or_b32 exec_lo, exec_lo, s5
	s_delay_alu instid0(SALU_CYCLE_1)
	s_and_b32 s2, s9, exec_lo
.LBB33_28:
	s_or_b32 exec_lo, exec_lo, s14
	s_delay_alu instid0(SALU_CYCLE_1)
	s_or_not1_b32 s2, s2, exec_lo
.LBB33_29:
	s_or_b32 exec_lo, exec_lo, s12
	s_delay_alu instid0(SALU_CYCLE_1)
	s_and_b32 exec_lo, exec_lo, s2
	s_cbranch_execz .LBB33_31
; %bb.30:
	s_load_b64 s[0:1], s[0:1], 0x40
	v_mov_b32_e32 v0, 0
	s_wait_kmcnt 0x0
	global_store_b32 v0, v13, s[0:1]
.LBB33_31:
	s_endpgm
	.section	.rodata,"a",@progbits
	.p2align	6, 0x0
	.amdhsa_kernel _ZN9rocsparseL23check_matrix_csr_deviceILj256ELj8EfliEEvT3_S1_T2_PKT1_PKS2_PKS1_S9_21rocsparse_index_base_22rocsparse_matrix_type_20rocsparse_fill_mode_23rocsparse_storage_mode_P22rocsparse_data_status_
		.amdhsa_group_segment_fixed_size 0
		.amdhsa_private_segment_fixed_size 0
		.amdhsa_kernarg_size 72
		.amdhsa_user_sgpr_count 2
		.amdhsa_user_sgpr_dispatch_ptr 0
		.amdhsa_user_sgpr_queue_ptr 0
		.amdhsa_user_sgpr_kernarg_segment_ptr 1
		.amdhsa_user_sgpr_dispatch_id 0
		.amdhsa_user_sgpr_kernarg_preload_length 0
		.amdhsa_user_sgpr_kernarg_preload_offset 0
		.amdhsa_user_sgpr_private_segment_size 0
		.amdhsa_wavefront_size32 1
		.amdhsa_uses_dynamic_stack 0
		.amdhsa_enable_private_segment 0
		.amdhsa_system_sgpr_workgroup_id_x 1
		.amdhsa_system_sgpr_workgroup_id_y 0
		.amdhsa_system_sgpr_workgroup_id_z 0
		.amdhsa_system_sgpr_workgroup_info 0
		.amdhsa_system_vgpr_workitem_id 0
		.amdhsa_next_free_vgpr 18
		.amdhsa_next_free_sgpr 23
		.amdhsa_named_barrier_count 0
		.amdhsa_reserve_vcc 1
		.amdhsa_float_round_mode_32 0
		.amdhsa_float_round_mode_16_64 0
		.amdhsa_float_denorm_mode_32 3
		.amdhsa_float_denorm_mode_16_64 3
		.amdhsa_fp16_overflow 0
		.amdhsa_memory_ordered 1
		.amdhsa_forward_progress 1
		.amdhsa_inst_pref_size 8
		.amdhsa_round_robin_scheduling 0
		.amdhsa_exception_fp_ieee_invalid_op 0
		.amdhsa_exception_fp_denorm_src 0
		.amdhsa_exception_fp_ieee_div_zero 0
		.amdhsa_exception_fp_ieee_overflow 0
		.amdhsa_exception_fp_ieee_underflow 0
		.amdhsa_exception_fp_ieee_inexact 0
		.amdhsa_exception_int_div_zero 0
	.end_amdhsa_kernel
	.section	.text._ZN9rocsparseL23check_matrix_csr_deviceILj256ELj8EfliEEvT3_S1_T2_PKT1_PKS2_PKS1_S9_21rocsparse_index_base_22rocsparse_matrix_type_20rocsparse_fill_mode_23rocsparse_storage_mode_P22rocsparse_data_status_,"axG",@progbits,_ZN9rocsparseL23check_matrix_csr_deviceILj256ELj8EfliEEvT3_S1_T2_PKT1_PKS2_PKS1_S9_21rocsparse_index_base_22rocsparse_matrix_type_20rocsparse_fill_mode_23rocsparse_storage_mode_P22rocsparse_data_status_,comdat
.Lfunc_end33:
	.size	_ZN9rocsparseL23check_matrix_csr_deviceILj256ELj8EfliEEvT3_S1_T2_PKT1_PKS2_PKS1_S9_21rocsparse_index_base_22rocsparse_matrix_type_20rocsparse_fill_mode_23rocsparse_storage_mode_P22rocsparse_data_status_, .Lfunc_end33-_ZN9rocsparseL23check_matrix_csr_deviceILj256ELj8EfliEEvT3_S1_T2_PKT1_PKS2_PKS1_S9_21rocsparse_index_base_22rocsparse_matrix_type_20rocsparse_fill_mode_23rocsparse_storage_mode_P22rocsparse_data_status_
                                        ; -- End function
	.set _ZN9rocsparseL23check_matrix_csr_deviceILj256ELj8EfliEEvT3_S1_T2_PKT1_PKS2_PKS1_S9_21rocsparse_index_base_22rocsparse_matrix_type_20rocsparse_fill_mode_23rocsparse_storage_mode_P22rocsparse_data_status_.num_vgpr, 18
	.set _ZN9rocsparseL23check_matrix_csr_deviceILj256ELj8EfliEEvT3_S1_T2_PKT1_PKS2_PKS1_S9_21rocsparse_index_base_22rocsparse_matrix_type_20rocsparse_fill_mode_23rocsparse_storage_mode_P22rocsparse_data_status_.num_agpr, 0
	.set _ZN9rocsparseL23check_matrix_csr_deviceILj256ELj8EfliEEvT3_S1_T2_PKT1_PKS2_PKS1_S9_21rocsparse_index_base_22rocsparse_matrix_type_20rocsparse_fill_mode_23rocsparse_storage_mode_P22rocsparse_data_status_.numbered_sgpr, 23
	.set _ZN9rocsparseL23check_matrix_csr_deviceILj256ELj8EfliEEvT3_S1_T2_PKT1_PKS2_PKS1_S9_21rocsparse_index_base_22rocsparse_matrix_type_20rocsparse_fill_mode_23rocsparse_storage_mode_P22rocsparse_data_status_.num_named_barrier, 0
	.set _ZN9rocsparseL23check_matrix_csr_deviceILj256ELj8EfliEEvT3_S1_T2_PKT1_PKS2_PKS1_S9_21rocsparse_index_base_22rocsparse_matrix_type_20rocsparse_fill_mode_23rocsparse_storage_mode_P22rocsparse_data_status_.private_seg_size, 0
	.set _ZN9rocsparseL23check_matrix_csr_deviceILj256ELj8EfliEEvT3_S1_T2_PKT1_PKS2_PKS1_S9_21rocsparse_index_base_22rocsparse_matrix_type_20rocsparse_fill_mode_23rocsparse_storage_mode_P22rocsparse_data_status_.uses_vcc, 1
	.set _ZN9rocsparseL23check_matrix_csr_deviceILj256ELj8EfliEEvT3_S1_T2_PKT1_PKS2_PKS1_S9_21rocsparse_index_base_22rocsparse_matrix_type_20rocsparse_fill_mode_23rocsparse_storage_mode_P22rocsparse_data_status_.uses_flat_scratch, 0
	.set _ZN9rocsparseL23check_matrix_csr_deviceILj256ELj8EfliEEvT3_S1_T2_PKT1_PKS2_PKS1_S9_21rocsparse_index_base_22rocsparse_matrix_type_20rocsparse_fill_mode_23rocsparse_storage_mode_P22rocsparse_data_status_.has_dyn_sized_stack, 0
	.set _ZN9rocsparseL23check_matrix_csr_deviceILj256ELj8EfliEEvT3_S1_T2_PKT1_PKS2_PKS1_S9_21rocsparse_index_base_22rocsparse_matrix_type_20rocsparse_fill_mode_23rocsparse_storage_mode_P22rocsparse_data_status_.has_recursion, 0
	.set _ZN9rocsparseL23check_matrix_csr_deviceILj256ELj8EfliEEvT3_S1_T2_PKT1_PKS2_PKS1_S9_21rocsparse_index_base_22rocsparse_matrix_type_20rocsparse_fill_mode_23rocsparse_storage_mode_P22rocsparse_data_status_.has_indirect_call, 0
	.section	.AMDGPU.csdata,"",@progbits
; Kernel info:
; codeLenInByte = 1016
; TotalNumSgprs: 25
; NumVgprs: 18
; ScratchSize: 0
; MemoryBound: 0
; FloatMode: 240
; IeeeMode: 1
; LDSByteSize: 0 bytes/workgroup (compile time only)
; SGPRBlocks: 0
; VGPRBlocks: 1
; NumSGPRsForWavesPerEU: 25
; NumVGPRsForWavesPerEU: 18
; NamedBarCnt: 0
; Occupancy: 16
; WaveLimiterHint : 0
; COMPUTE_PGM_RSRC2:SCRATCH_EN: 0
; COMPUTE_PGM_RSRC2:USER_SGPR: 2
; COMPUTE_PGM_RSRC2:TRAP_HANDLER: 0
; COMPUTE_PGM_RSRC2:TGID_X_EN: 1
; COMPUTE_PGM_RSRC2:TGID_Y_EN: 0
; COMPUTE_PGM_RSRC2:TGID_Z_EN: 0
; COMPUTE_PGM_RSRC2:TIDIG_COMP_CNT: 0
	.section	.text._ZN9rocsparseL23check_matrix_csr_deviceILj256ELj16EfliEEvT3_S1_T2_PKT1_PKS2_PKS1_S9_21rocsparse_index_base_22rocsparse_matrix_type_20rocsparse_fill_mode_23rocsparse_storage_mode_P22rocsparse_data_status_,"axG",@progbits,_ZN9rocsparseL23check_matrix_csr_deviceILj256ELj16EfliEEvT3_S1_T2_PKT1_PKS2_PKS1_S9_21rocsparse_index_base_22rocsparse_matrix_type_20rocsparse_fill_mode_23rocsparse_storage_mode_P22rocsparse_data_status_,comdat
	.globl	_ZN9rocsparseL23check_matrix_csr_deviceILj256ELj16EfliEEvT3_S1_T2_PKT1_PKS2_PKS1_S9_21rocsparse_index_base_22rocsparse_matrix_type_20rocsparse_fill_mode_23rocsparse_storage_mode_P22rocsparse_data_status_ ; -- Begin function _ZN9rocsparseL23check_matrix_csr_deviceILj256ELj16EfliEEvT3_S1_T2_PKT1_PKS2_PKS1_S9_21rocsparse_index_base_22rocsparse_matrix_type_20rocsparse_fill_mode_23rocsparse_storage_mode_P22rocsparse_data_status_
	.p2align	8
	.type	_ZN9rocsparseL23check_matrix_csr_deviceILj256ELj16EfliEEvT3_S1_T2_PKT1_PKS2_PKS1_S9_21rocsparse_index_base_22rocsparse_matrix_type_20rocsparse_fill_mode_23rocsparse_storage_mode_P22rocsparse_data_status_,@function
_ZN9rocsparseL23check_matrix_csr_deviceILj256ELj16EfliEEvT3_S1_T2_PKT1_PKS2_PKS1_S9_21rocsparse_index_base_22rocsparse_matrix_type_20rocsparse_fill_mode_23rocsparse_storage_mode_P22rocsparse_data_status_: ; @_ZN9rocsparseL23check_matrix_csr_deviceILj256ELj16EfliEEvT3_S1_T2_PKT1_PKS2_PKS1_S9_21rocsparse_index_base_22rocsparse_matrix_type_20rocsparse_fill_mode_23rocsparse_storage_mode_P22rocsparse_data_status_
; %bb.0:
	s_bfe_u32 s2, ttmp6, 0x4000c
	s_load_b64 s[12:13], s[0:1], 0x0
	s_add_co_i32 s2, s2, 1
	s_and_b32 s3, ttmp6, 15
	s_mul_i32 s2, ttmp9, s2
	s_getreg_b32 s4, hwreg(HW_REG_IB_STS2, 6, 4)
	s_add_co_i32 s3, s3, s2
	s_cmp_eq_u32 s4, 0
	s_cselect_b32 s2, ttmp9, s3
	s_delay_alu instid0(SALU_CYCLE_1) | instskip(SKIP_1) | instid1(VALU_DEP_1)
	v_lshl_or_b32 v1, s2, 8, v0
	s_mov_b32 s2, exec_lo
	v_lshrrev_b32_e32 v12, 4, v1
	s_wait_kmcnt 0x0
	s_delay_alu instid0(VALU_DEP_1)
	v_cmpx_gt_i32_e64 s12, v12
	s_cbranch_execz .LBB34_31
; %bb.1:
	s_load_b64 s[2:3], s[0:1], 0x18
	v_dual_lshlrev_b32 v1, 3, v12 :: v_dual_mov_b32 v13, 3
	s_wait_kmcnt 0x0
	global_load_b128 v[6:9], v1, s[2:3]
	s_wait_xcnt 0x0
	s_load_b64 s[2:3], s[2:3], 0x0
	s_wait_loadcnt 0x0
	s_wait_kmcnt 0x0
	v_sub_nc_u64_e64 v[2:3], v[8:9], s[2:3]
	v_sub_nc_u64_e64 v[4:5], v[6:7], s[2:3]
	v_cmp_lt_i64_e64 s2, v[8:9], v[6:7]
	s_delay_alu instid0(VALU_DEP_3) | instskip(NEXT) | instid1(VALU_DEP_3)
	v_cmp_gt_i64_e32 vcc_lo, 0, v[2:3]
	v_cmp_lt_i64_e64 s3, -1, v[4:5]
	s_or_b32 s2, vcc_lo, s2
	s_delay_alu instid0(SALU_CYCLE_1) | instskip(SKIP_2) | instid1(SALU_CYCLE_1)
	s_xor_b32 s4, s2, -1
	s_mov_b32 s2, -1
	s_and_b32 s3, s3, s4
	s_and_saveexec_b32 s12, s3
	s_cbranch_execz .LBB34_29
; %bb.2:
	v_dual_mov_b32 v1, 0 :: v_dual_bitop2_b32 v0, 15, v0 bitop3:0x40
	v_mov_b32_e32 v13, 3
	s_mov_b32 s2, 0
	s_mov_b32 s14, exec_lo
	s_delay_alu instid0(VALU_DEP_2) | instskip(NEXT) | instid1(VALU_DEP_1)
	v_add_nc_u64_e32 v[0:1], v[4:5], v[0:1]
	v_cmpx_lt_u64_e64 v[0:1], v[2:3]
	s_cbranch_execz .LBB34_28
; %bb.3:
	s_clause 0x1
	s_load_b256 s[4:11], s[0:1], 0x20
	s_load_b64 s[2:3], s[0:1], 0x10
	v_lshlrev_b64_e32 v[10:11], 2, v[0:1]
	s_wait_kmcnt 0x0
	s_delay_alu instid0(VALU_DEP_1)
	v_add_nc_u64_e32 v[8:9], s[6:7], v[10:11]
	s_cmp_lg_u32 s9, 0
	v_add_nc_u64_e32 v[6:7], s[2:3], v[10:11]
	v_add_nc_u64_e32 v[10:11], s[4:5], v[10:11]
	s_cselect_b32 s6, -1, 0
	s_cmp_lg_u32 s10, 0
	s_mov_b32 s5, 0
	v_add_nc_u64_e32 v[8:9], -4, v[8:9]
	s_cselect_b32 s4, -1, 0
	s_cmp_lg_u32 s11, 0
                                        ; implicit-def: $sgpr9
                                        ; implicit-def: $sgpr10
                                        ; implicit-def: $sgpr11
	s_cselect_b32 s7, -1, 0
	s_branch .LBB34_10
.LBB34_4:                               ;   in Loop: Header=BB34_10 Depth=1
	s_or_b32 exec_lo, exec_lo, s3
	s_delay_alu instid0(SALU_CYCLE_1)
	s_or_not1_b32 s22, s2, exec_lo
	s_or_not1_b32 s2, s19, exec_lo
.LBB34_5:                               ;   in Loop: Header=BB34_10 Depth=1
	s_or_b32 exec_lo, exec_lo, s20
	s_delay_alu instid0(SALU_CYCLE_1)
	s_or_not1_b32 s3, s22, exec_lo
	s_or_not1_b32 s2, s2, exec_lo
.LBB34_6:                               ;   in Loop: Header=BB34_10 Depth=1
	s_or_b32 exec_lo, exec_lo, s18
	s_delay_alu instid0(SALU_CYCLE_1)
	s_or_not1_b32 s3, s3, exec_lo
	s_or_not1_b32 s2, s2, exec_lo
.LBB34_7:                               ;   in Loop: Header=BB34_10 Depth=1
	s_or_b32 exec_lo, exec_lo, s17
	s_delay_alu instid0(SALU_CYCLE_1)
	s_or_not1_b32 s3, s3, exec_lo
	s_or_not1_b32 s2, s2, exec_lo
.LBB34_8:                               ;   in Loop: Header=BB34_10 Depth=1
	s_or_b32 exec_lo, exec_lo, s16
	s_delay_alu instid0(SALU_CYCLE_1)
	s_and_not1_b32 s11, s11, exec_lo
	s_and_b32 s3, s3, exec_lo
	s_and_not1_b32 s10, s10, exec_lo
	s_and_b32 s2, s2, exec_lo
	s_or_b32 s11, s11, s3
	s_or_b32 s10, s10, s2
.LBB34_9:                               ;   in Loop: Header=BB34_10 Depth=1
	s_or_b32 exec_lo, exec_lo, s15
	s_delay_alu instid0(SALU_CYCLE_1) | instskip(NEXT) | instid1(SALU_CYCLE_1)
	s_and_b32 s2, exec_lo, s10
	s_or_b32 s5, s2, s5
	s_and_not1_b32 s2, s9, exec_lo
	s_and_b32 s3, s11, exec_lo
	s_delay_alu instid0(SALU_CYCLE_1)
	s_or_b32 s9, s2, s3
	s_and_not1_b32 exec_lo, exec_lo, s5
	s_cbranch_execz .LBB34_27
.LBB34_10:                              ; =>This Inner Loop Header: Depth=1
	global_load_b32 v14, v[10:11], off
	v_mov_b32_e32 v13, 4
	s_or_b32 s11, s11, exec_lo
	s_or_b32 s10, s10, exec_lo
	s_wait_loadcnt 0x0
	v_subrev_nc_u32_e32 v15, s8, v14
	s_delay_alu instid0(VALU_DEP_1) | instskip(SKIP_2) | instid1(SALU_CYCLE_1)
	v_cmp_lt_i32_e32 vcc_lo, -1, v15
	v_cmp_gt_i32_e64 s2, s13, v15
	s_and_b32 s2, vcc_lo, s2
	s_and_saveexec_b32 s15, s2
	s_cbranch_execz .LBB34_9
; %bb.11:                               ;   in Loop: Header=BB34_10 Depth=1
	v_cmp_le_i64_e64 s19, v[0:1], v[4:5]
	v_mov_b32_e32 v13, 4
	s_mov_b32 s16, exec_lo
	s_mov_b32 s17, s19
	v_cmpx_gt_i64_e64 v[0:1], v[4:5]
	s_cbranch_execz .LBB34_13
; %bb.12:                               ;   in Loop: Header=BB34_10 Depth=1
	global_load_b64 v[16:17], v[8:9], off
	s_wait_loadcnt 0x0
	v_subrev_nc_u32_e32 v13, s8, v16
	v_cmp_ne_u32_e64 s3, v17, v16
	s_delay_alu instid0(VALU_DEP_2) | instskip(SKIP_3) | instid1(SALU_CYCLE_1)
	v_cmp_lt_i32_e32 vcc_lo, -1, v13
	v_cmp_gt_i32_e64 s2, s13, v13
	v_mov_b32_e32 v13, 5
	s_and_b32 s2, vcc_lo, s2
	s_xor_b32 s2, s2, -1
	s_delay_alu instid0(SALU_CYCLE_1) | instskip(SKIP_2) | instid1(SALU_CYCLE_1)
	s_or_b32 s2, s3, s2
	s_and_not1_b32 s3, s19, exec_lo
	s_and_b32 s2, s2, exec_lo
	s_or_b32 s17, s3, s2
.LBB34_13:                              ;   in Loop: Header=BB34_10 Depth=1
	s_or_b32 exec_lo, exec_lo, s16
	s_mov_b32 s2, -1
	s_mov_b32 s3, -1
	s_and_saveexec_b32 s16, s17
	s_cbranch_execz .LBB34_8
; %bb.14:                               ;   in Loop: Header=BB34_10 Depth=1
	global_load_b32 v16, v[6:7], off
	v_mov_b32_e32 v13, 1
	s_mov_b32 s17, exec_lo
	s_wait_loadcnt 0x0
	v_cmpx_neq_f32_e32 0x7f800000, v16
	s_cbranch_execz .LBB34_7
; %bb.15:                               ;   in Loop: Header=BB34_10 Depth=1
	v_mov_b32_e32 v13, 2
	s_mov_b32 s18, exec_lo
	v_cmpx_o_f32_e32 v16, v16
	s_cbranch_execz .LBB34_6
; %bb.16:                               ;   in Loop: Header=BB34_10 Depth=1
	s_and_b32 vcc_lo, exec_lo, s6
	s_cbranch_vccz .LBB34_19
; %bb.17:                               ;   in Loop: Header=BB34_10 Depth=1
	s_and_b32 vcc_lo, exec_lo, s4
	s_cbranch_vccz .LBB34_20
; %bb.18:                               ;   in Loop: Header=BB34_10 Depth=1
	v_cmp_le_i32_e32 vcc_lo, v12, v15
	s_mov_b32 s3, 7
	s_and_b32 s21, vcc_lo, exec_lo
	s_cbranch_execz .LBB34_21
	s_branch .LBB34_22
.LBB34_19:                              ;   in Loop: Header=BB34_10 Depth=1
	s_mov_b32 s3, 2
	s_mov_b32 s21, -1
	s_branch .LBB34_22
.LBB34_20:                              ;   in Loop: Header=BB34_10 Depth=1
	s_mov_b32 s21, 0
	s_mov_b32 s3, 2
.LBB34_21:                              ;   in Loop: Header=BB34_10 Depth=1
	v_cmp_ge_i32_e32 vcc_lo, v12, v15
	s_and_not1_b32 s20, s21, exec_lo
	s_mov_b32 s3, 7
	s_and_b32 s21, vcc_lo, exec_lo
	s_delay_alu instid0(SALU_CYCLE_1)
	s_or_b32 s21, s20, s21
.LBB34_22:                              ;   in Loop: Header=BB34_10 Depth=1
	v_mov_b32_e32 v13, s3
	s_mov_b32 s22, -1
	s_and_saveexec_b32 s20, s21
	s_cbranch_execz .LBB34_5
; %bb.23:                               ;   in Loop: Header=BB34_10 Depth=1
	v_mov_b32_e32 v13, s3
	s_nor_b32 s2, s7, s19
	s_mov_b32 s19, -1
	s_and_saveexec_b32 s21, s2
	s_cbranch_execz .LBB34_25
; %bb.24:                               ;   in Loop: Header=BB34_10 Depth=1
	global_load_b32 v13, v[10:11], off offset:-4
	s_wait_loadcnt 0x0
	v_subrev_nc_u32_e32 v15, s8, v13
	v_cmp_gt_i32_e64 s3, v14, v13
	v_mov_b32_e32 v13, 6
	s_delay_alu instid0(VALU_DEP_3) | instskip(SKIP_2) | instid1(SALU_CYCLE_1)
	v_cmp_lt_i32_e32 vcc_lo, -1, v15
	v_cmp_gt_i32_e64 s2, s13, v15
	s_and_b32 s2, vcc_lo, s2
	s_xor_b32 s2, s2, -1
	s_delay_alu instid0(SALU_CYCLE_1) | instskip(NEXT) | instid1(SALU_CYCLE_1)
	s_or_b32 s2, s3, s2
	s_or_not1_b32 s22, s2, exec_lo
.LBB34_25:                              ;   in Loop: Header=BB34_10 Depth=1
	s_or_b32 exec_lo, exec_lo, s21
	s_mov_b32 s2, -1
	s_and_saveexec_b32 s3, s22
	s_cbranch_execz .LBB34_4
; %bb.26:                               ;   in Loop: Header=BB34_10 Depth=1
	v_add_nc_u64_e32 v[0:1], 16, v[0:1]
	v_add_nc_u64_e32 v[8:9], 64, v[8:9]
	;; [unrolled: 1-line block ×4, first 2 shown]
	s_xor_b32 s2, exec_lo, -1
	s_delay_alu instid0(VALU_DEP_4)
	v_cmp_ge_i64_e32 vcc_lo, v[0:1], v[2:3]
	s_or_not1_b32 s19, vcc_lo, exec_lo
	s_branch .LBB34_4
.LBB34_27:
	s_or_b32 exec_lo, exec_lo, s5
	s_delay_alu instid0(SALU_CYCLE_1)
	s_and_b32 s2, s9, exec_lo
.LBB34_28:
	s_or_b32 exec_lo, exec_lo, s14
	s_delay_alu instid0(SALU_CYCLE_1)
	s_or_not1_b32 s2, s2, exec_lo
.LBB34_29:
	s_or_b32 exec_lo, exec_lo, s12
	s_delay_alu instid0(SALU_CYCLE_1)
	s_and_b32 exec_lo, exec_lo, s2
	s_cbranch_execz .LBB34_31
; %bb.30:
	s_load_b64 s[0:1], s[0:1], 0x40
	v_mov_b32_e32 v0, 0
	s_wait_kmcnt 0x0
	global_store_b32 v0, v13, s[0:1]
.LBB34_31:
	s_endpgm
	.section	.rodata,"a",@progbits
	.p2align	6, 0x0
	.amdhsa_kernel _ZN9rocsparseL23check_matrix_csr_deviceILj256ELj16EfliEEvT3_S1_T2_PKT1_PKS2_PKS1_S9_21rocsparse_index_base_22rocsparse_matrix_type_20rocsparse_fill_mode_23rocsparse_storage_mode_P22rocsparse_data_status_
		.amdhsa_group_segment_fixed_size 0
		.amdhsa_private_segment_fixed_size 0
		.amdhsa_kernarg_size 72
		.amdhsa_user_sgpr_count 2
		.amdhsa_user_sgpr_dispatch_ptr 0
		.amdhsa_user_sgpr_queue_ptr 0
		.amdhsa_user_sgpr_kernarg_segment_ptr 1
		.amdhsa_user_sgpr_dispatch_id 0
		.amdhsa_user_sgpr_kernarg_preload_length 0
		.amdhsa_user_sgpr_kernarg_preload_offset 0
		.amdhsa_user_sgpr_private_segment_size 0
		.amdhsa_wavefront_size32 1
		.amdhsa_uses_dynamic_stack 0
		.amdhsa_enable_private_segment 0
		.amdhsa_system_sgpr_workgroup_id_x 1
		.amdhsa_system_sgpr_workgroup_id_y 0
		.amdhsa_system_sgpr_workgroup_id_z 0
		.amdhsa_system_sgpr_workgroup_info 0
		.amdhsa_system_vgpr_workitem_id 0
		.amdhsa_next_free_vgpr 18
		.amdhsa_next_free_sgpr 23
		.amdhsa_named_barrier_count 0
		.amdhsa_reserve_vcc 1
		.amdhsa_float_round_mode_32 0
		.amdhsa_float_round_mode_16_64 0
		.amdhsa_float_denorm_mode_32 3
		.amdhsa_float_denorm_mode_16_64 3
		.amdhsa_fp16_overflow 0
		.amdhsa_memory_ordered 1
		.amdhsa_forward_progress 1
		.amdhsa_inst_pref_size 8
		.amdhsa_round_robin_scheduling 0
		.amdhsa_exception_fp_ieee_invalid_op 0
		.amdhsa_exception_fp_denorm_src 0
		.amdhsa_exception_fp_ieee_div_zero 0
		.amdhsa_exception_fp_ieee_overflow 0
		.amdhsa_exception_fp_ieee_underflow 0
		.amdhsa_exception_fp_ieee_inexact 0
		.amdhsa_exception_int_div_zero 0
	.end_amdhsa_kernel
	.section	.text._ZN9rocsparseL23check_matrix_csr_deviceILj256ELj16EfliEEvT3_S1_T2_PKT1_PKS2_PKS1_S9_21rocsparse_index_base_22rocsparse_matrix_type_20rocsparse_fill_mode_23rocsparse_storage_mode_P22rocsparse_data_status_,"axG",@progbits,_ZN9rocsparseL23check_matrix_csr_deviceILj256ELj16EfliEEvT3_S1_T2_PKT1_PKS2_PKS1_S9_21rocsparse_index_base_22rocsparse_matrix_type_20rocsparse_fill_mode_23rocsparse_storage_mode_P22rocsparse_data_status_,comdat
.Lfunc_end34:
	.size	_ZN9rocsparseL23check_matrix_csr_deviceILj256ELj16EfliEEvT3_S1_T2_PKT1_PKS2_PKS1_S9_21rocsparse_index_base_22rocsparse_matrix_type_20rocsparse_fill_mode_23rocsparse_storage_mode_P22rocsparse_data_status_, .Lfunc_end34-_ZN9rocsparseL23check_matrix_csr_deviceILj256ELj16EfliEEvT3_S1_T2_PKT1_PKS2_PKS1_S9_21rocsparse_index_base_22rocsparse_matrix_type_20rocsparse_fill_mode_23rocsparse_storage_mode_P22rocsparse_data_status_
                                        ; -- End function
	.set _ZN9rocsparseL23check_matrix_csr_deviceILj256ELj16EfliEEvT3_S1_T2_PKT1_PKS2_PKS1_S9_21rocsparse_index_base_22rocsparse_matrix_type_20rocsparse_fill_mode_23rocsparse_storage_mode_P22rocsparse_data_status_.num_vgpr, 18
	.set _ZN9rocsparseL23check_matrix_csr_deviceILj256ELj16EfliEEvT3_S1_T2_PKT1_PKS2_PKS1_S9_21rocsparse_index_base_22rocsparse_matrix_type_20rocsparse_fill_mode_23rocsparse_storage_mode_P22rocsparse_data_status_.num_agpr, 0
	.set _ZN9rocsparseL23check_matrix_csr_deviceILj256ELj16EfliEEvT3_S1_T2_PKT1_PKS2_PKS1_S9_21rocsparse_index_base_22rocsparse_matrix_type_20rocsparse_fill_mode_23rocsparse_storage_mode_P22rocsparse_data_status_.numbered_sgpr, 23
	.set _ZN9rocsparseL23check_matrix_csr_deviceILj256ELj16EfliEEvT3_S1_T2_PKT1_PKS2_PKS1_S9_21rocsparse_index_base_22rocsparse_matrix_type_20rocsparse_fill_mode_23rocsparse_storage_mode_P22rocsparse_data_status_.num_named_barrier, 0
	.set _ZN9rocsparseL23check_matrix_csr_deviceILj256ELj16EfliEEvT3_S1_T2_PKT1_PKS2_PKS1_S9_21rocsparse_index_base_22rocsparse_matrix_type_20rocsparse_fill_mode_23rocsparse_storage_mode_P22rocsparse_data_status_.private_seg_size, 0
	.set _ZN9rocsparseL23check_matrix_csr_deviceILj256ELj16EfliEEvT3_S1_T2_PKT1_PKS2_PKS1_S9_21rocsparse_index_base_22rocsparse_matrix_type_20rocsparse_fill_mode_23rocsparse_storage_mode_P22rocsparse_data_status_.uses_vcc, 1
	.set _ZN9rocsparseL23check_matrix_csr_deviceILj256ELj16EfliEEvT3_S1_T2_PKT1_PKS2_PKS1_S9_21rocsparse_index_base_22rocsparse_matrix_type_20rocsparse_fill_mode_23rocsparse_storage_mode_P22rocsparse_data_status_.uses_flat_scratch, 0
	.set _ZN9rocsparseL23check_matrix_csr_deviceILj256ELj16EfliEEvT3_S1_T2_PKT1_PKS2_PKS1_S9_21rocsparse_index_base_22rocsparse_matrix_type_20rocsparse_fill_mode_23rocsparse_storage_mode_P22rocsparse_data_status_.has_dyn_sized_stack, 0
	.set _ZN9rocsparseL23check_matrix_csr_deviceILj256ELj16EfliEEvT3_S1_T2_PKT1_PKS2_PKS1_S9_21rocsparse_index_base_22rocsparse_matrix_type_20rocsparse_fill_mode_23rocsparse_storage_mode_P22rocsparse_data_status_.has_recursion, 0
	.set _ZN9rocsparseL23check_matrix_csr_deviceILj256ELj16EfliEEvT3_S1_T2_PKT1_PKS2_PKS1_S9_21rocsparse_index_base_22rocsparse_matrix_type_20rocsparse_fill_mode_23rocsparse_storage_mode_P22rocsparse_data_status_.has_indirect_call, 0
	.section	.AMDGPU.csdata,"",@progbits
; Kernel info:
; codeLenInByte = 1016
; TotalNumSgprs: 25
; NumVgprs: 18
; ScratchSize: 0
; MemoryBound: 0
; FloatMode: 240
; IeeeMode: 1
; LDSByteSize: 0 bytes/workgroup (compile time only)
; SGPRBlocks: 0
; VGPRBlocks: 1
; NumSGPRsForWavesPerEU: 25
; NumVGPRsForWavesPerEU: 18
; NamedBarCnt: 0
; Occupancy: 16
; WaveLimiterHint : 0
; COMPUTE_PGM_RSRC2:SCRATCH_EN: 0
; COMPUTE_PGM_RSRC2:USER_SGPR: 2
; COMPUTE_PGM_RSRC2:TRAP_HANDLER: 0
; COMPUTE_PGM_RSRC2:TGID_X_EN: 1
; COMPUTE_PGM_RSRC2:TGID_Y_EN: 0
; COMPUTE_PGM_RSRC2:TGID_Z_EN: 0
; COMPUTE_PGM_RSRC2:TIDIG_COMP_CNT: 0
	.section	.text._ZN9rocsparseL23check_matrix_csr_deviceILj256ELj32EfliEEvT3_S1_T2_PKT1_PKS2_PKS1_S9_21rocsparse_index_base_22rocsparse_matrix_type_20rocsparse_fill_mode_23rocsparse_storage_mode_P22rocsparse_data_status_,"axG",@progbits,_ZN9rocsparseL23check_matrix_csr_deviceILj256ELj32EfliEEvT3_S1_T2_PKT1_PKS2_PKS1_S9_21rocsparse_index_base_22rocsparse_matrix_type_20rocsparse_fill_mode_23rocsparse_storage_mode_P22rocsparse_data_status_,comdat
	.globl	_ZN9rocsparseL23check_matrix_csr_deviceILj256ELj32EfliEEvT3_S1_T2_PKT1_PKS2_PKS1_S9_21rocsparse_index_base_22rocsparse_matrix_type_20rocsparse_fill_mode_23rocsparse_storage_mode_P22rocsparse_data_status_ ; -- Begin function _ZN9rocsparseL23check_matrix_csr_deviceILj256ELj32EfliEEvT3_S1_T2_PKT1_PKS2_PKS1_S9_21rocsparse_index_base_22rocsparse_matrix_type_20rocsparse_fill_mode_23rocsparse_storage_mode_P22rocsparse_data_status_
	.p2align	8
	.type	_ZN9rocsparseL23check_matrix_csr_deviceILj256ELj32EfliEEvT3_S1_T2_PKT1_PKS2_PKS1_S9_21rocsparse_index_base_22rocsparse_matrix_type_20rocsparse_fill_mode_23rocsparse_storage_mode_P22rocsparse_data_status_,@function
_ZN9rocsparseL23check_matrix_csr_deviceILj256ELj32EfliEEvT3_S1_T2_PKT1_PKS2_PKS1_S9_21rocsparse_index_base_22rocsparse_matrix_type_20rocsparse_fill_mode_23rocsparse_storage_mode_P22rocsparse_data_status_: ; @_ZN9rocsparseL23check_matrix_csr_deviceILj256ELj32EfliEEvT3_S1_T2_PKT1_PKS2_PKS1_S9_21rocsparse_index_base_22rocsparse_matrix_type_20rocsparse_fill_mode_23rocsparse_storage_mode_P22rocsparse_data_status_
; %bb.0:
	s_bfe_u32 s2, ttmp6, 0x4000c
	s_load_b64 s[12:13], s[0:1], 0x0
	s_add_co_i32 s2, s2, 1
	s_and_b32 s3, ttmp6, 15
	s_mul_i32 s2, ttmp9, s2
	s_getreg_b32 s4, hwreg(HW_REG_IB_STS2, 6, 4)
	s_add_co_i32 s3, s3, s2
	s_cmp_eq_u32 s4, 0
	s_cselect_b32 s2, ttmp9, s3
	s_delay_alu instid0(SALU_CYCLE_1) | instskip(SKIP_1) | instid1(VALU_DEP_1)
	v_lshl_or_b32 v1, s2, 8, v0
	s_mov_b32 s2, exec_lo
	v_lshrrev_b32_e32 v12, 5, v1
	s_wait_kmcnt 0x0
	s_delay_alu instid0(VALU_DEP_1)
	v_cmpx_gt_i32_e64 s12, v12
	s_cbranch_execz .LBB35_31
; %bb.1:
	s_load_b64 s[2:3], s[0:1], 0x18
	v_dual_lshlrev_b32 v1, 3, v12 :: v_dual_mov_b32 v13, 3
	s_wait_kmcnt 0x0
	global_load_b128 v[6:9], v1, s[2:3]
	s_wait_xcnt 0x0
	s_load_b64 s[2:3], s[2:3], 0x0
	s_wait_loadcnt 0x0
	s_wait_kmcnt 0x0
	v_sub_nc_u64_e64 v[2:3], v[8:9], s[2:3]
	v_sub_nc_u64_e64 v[4:5], v[6:7], s[2:3]
	v_cmp_lt_i64_e64 s2, v[8:9], v[6:7]
	s_delay_alu instid0(VALU_DEP_3) | instskip(NEXT) | instid1(VALU_DEP_3)
	v_cmp_gt_i64_e32 vcc_lo, 0, v[2:3]
	v_cmp_lt_i64_e64 s3, -1, v[4:5]
	s_or_b32 s2, vcc_lo, s2
	s_delay_alu instid0(SALU_CYCLE_1) | instskip(SKIP_2) | instid1(SALU_CYCLE_1)
	s_xor_b32 s4, s2, -1
	s_mov_b32 s2, -1
	s_and_b32 s3, s3, s4
	s_and_saveexec_b32 s12, s3
	s_cbranch_execz .LBB35_29
; %bb.2:
	v_dual_mov_b32 v1, 0 :: v_dual_bitop2_b32 v0, 31, v0 bitop3:0x40
	v_mov_b32_e32 v13, 3
	s_mov_b32 s2, 0
	s_mov_b32 s14, exec_lo
	s_delay_alu instid0(VALU_DEP_2) | instskip(NEXT) | instid1(VALU_DEP_1)
	v_add_nc_u64_e32 v[0:1], v[4:5], v[0:1]
	v_cmpx_lt_u64_e64 v[0:1], v[2:3]
	s_cbranch_execz .LBB35_28
; %bb.3:
	s_clause 0x1
	s_load_b256 s[4:11], s[0:1], 0x20
	s_load_b64 s[2:3], s[0:1], 0x10
	v_lshlrev_b64_e32 v[10:11], 2, v[0:1]
	s_wait_kmcnt 0x0
	s_delay_alu instid0(VALU_DEP_1)
	v_add_nc_u64_e32 v[8:9], s[6:7], v[10:11]
	s_cmp_lg_u32 s9, 0
	v_add_nc_u64_e32 v[6:7], s[2:3], v[10:11]
	v_add_nc_u64_e32 v[10:11], s[4:5], v[10:11]
	s_cselect_b32 s6, -1, 0
	s_cmp_lg_u32 s10, 0
	s_mov_b32 s5, 0
	v_add_nc_u64_e32 v[8:9], -4, v[8:9]
	s_cselect_b32 s4, -1, 0
	s_cmp_lg_u32 s11, 0
                                        ; implicit-def: $sgpr9
                                        ; implicit-def: $sgpr10
                                        ; implicit-def: $sgpr11
	s_cselect_b32 s7, -1, 0
	s_branch .LBB35_10
.LBB35_4:                               ;   in Loop: Header=BB35_10 Depth=1
	s_or_b32 exec_lo, exec_lo, s3
	s_delay_alu instid0(SALU_CYCLE_1)
	s_or_not1_b32 s22, s2, exec_lo
	s_or_not1_b32 s2, s19, exec_lo
.LBB35_5:                               ;   in Loop: Header=BB35_10 Depth=1
	s_or_b32 exec_lo, exec_lo, s20
	s_delay_alu instid0(SALU_CYCLE_1)
	s_or_not1_b32 s3, s22, exec_lo
	s_or_not1_b32 s2, s2, exec_lo
.LBB35_6:                               ;   in Loop: Header=BB35_10 Depth=1
	s_or_b32 exec_lo, exec_lo, s18
	s_delay_alu instid0(SALU_CYCLE_1)
	s_or_not1_b32 s3, s3, exec_lo
	s_or_not1_b32 s2, s2, exec_lo
.LBB35_7:                               ;   in Loop: Header=BB35_10 Depth=1
	s_or_b32 exec_lo, exec_lo, s17
	s_delay_alu instid0(SALU_CYCLE_1)
	s_or_not1_b32 s3, s3, exec_lo
	s_or_not1_b32 s2, s2, exec_lo
.LBB35_8:                               ;   in Loop: Header=BB35_10 Depth=1
	s_or_b32 exec_lo, exec_lo, s16
	s_delay_alu instid0(SALU_CYCLE_1)
	s_and_not1_b32 s11, s11, exec_lo
	s_and_b32 s3, s3, exec_lo
	s_and_not1_b32 s10, s10, exec_lo
	s_and_b32 s2, s2, exec_lo
	s_or_b32 s11, s11, s3
	s_or_b32 s10, s10, s2
.LBB35_9:                               ;   in Loop: Header=BB35_10 Depth=1
	s_or_b32 exec_lo, exec_lo, s15
	s_delay_alu instid0(SALU_CYCLE_1) | instskip(NEXT) | instid1(SALU_CYCLE_1)
	s_and_b32 s2, exec_lo, s10
	s_or_b32 s5, s2, s5
	s_and_not1_b32 s2, s9, exec_lo
	s_and_b32 s3, s11, exec_lo
	s_delay_alu instid0(SALU_CYCLE_1)
	s_or_b32 s9, s2, s3
	s_and_not1_b32 exec_lo, exec_lo, s5
	s_cbranch_execz .LBB35_27
.LBB35_10:                              ; =>This Inner Loop Header: Depth=1
	global_load_b32 v14, v[10:11], off
	v_mov_b32_e32 v13, 4
	s_or_b32 s11, s11, exec_lo
	s_or_b32 s10, s10, exec_lo
	s_wait_loadcnt 0x0
	v_subrev_nc_u32_e32 v15, s8, v14
	s_delay_alu instid0(VALU_DEP_1) | instskip(SKIP_2) | instid1(SALU_CYCLE_1)
	v_cmp_lt_i32_e32 vcc_lo, -1, v15
	v_cmp_gt_i32_e64 s2, s13, v15
	s_and_b32 s2, vcc_lo, s2
	s_and_saveexec_b32 s15, s2
	s_cbranch_execz .LBB35_9
; %bb.11:                               ;   in Loop: Header=BB35_10 Depth=1
	v_cmp_le_i64_e64 s19, v[0:1], v[4:5]
	v_mov_b32_e32 v13, 4
	s_mov_b32 s16, exec_lo
	s_mov_b32 s17, s19
	v_cmpx_gt_i64_e64 v[0:1], v[4:5]
	s_cbranch_execz .LBB35_13
; %bb.12:                               ;   in Loop: Header=BB35_10 Depth=1
	global_load_b64 v[16:17], v[8:9], off
	s_wait_loadcnt 0x0
	v_subrev_nc_u32_e32 v13, s8, v16
	v_cmp_ne_u32_e64 s3, v17, v16
	s_delay_alu instid0(VALU_DEP_2) | instskip(SKIP_3) | instid1(SALU_CYCLE_1)
	v_cmp_lt_i32_e32 vcc_lo, -1, v13
	v_cmp_gt_i32_e64 s2, s13, v13
	v_mov_b32_e32 v13, 5
	s_and_b32 s2, vcc_lo, s2
	s_xor_b32 s2, s2, -1
	s_delay_alu instid0(SALU_CYCLE_1) | instskip(SKIP_2) | instid1(SALU_CYCLE_1)
	s_or_b32 s2, s3, s2
	s_and_not1_b32 s3, s19, exec_lo
	s_and_b32 s2, s2, exec_lo
	s_or_b32 s17, s3, s2
.LBB35_13:                              ;   in Loop: Header=BB35_10 Depth=1
	s_or_b32 exec_lo, exec_lo, s16
	s_mov_b32 s2, -1
	s_mov_b32 s3, -1
	s_and_saveexec_b32 s16, s17
	s_cbranch_execz .LBB35_8
; %bb.14:                               ;   in Loop: Header=BB35_10 Depth=1
	global_load_b32 v16, v[6:7], off
	v_mov_b32_e32 v13, 1
	s_mov_b32 s17, exec_lo
	s_wait_loadcnt 0x0
	v_cmpx_neq_f32_e32 0x7f800000, v16
	s_cbranch_execz .LBB35_7
; %bb.15:                               ;   in Loop: Header=BB35_10 Depth=1
	v_mov_b32_e32 v13, 2
	s_mov_b32 s18, exec_lo
	v_cmpx_o_f32_e32 v16, v16
	s_cbranch_execz .LBB35_6
; %bb.16:                               ;   in Loop: Header=BB35_10 Depth=1
	s_and_b32 vcc_lo, exec_lo, s6
	s_cbranch_vccz .LBB35_19
; %bb.17:                               ;   in Loop: Header=BB35_10 Depth=1
	s_and_b32 vcc_lo, exec_lo, s4
	s_cbranch_vccz .LBB35_20
; %bb.18:                               ;   in Loop: Header=BB35_10 Depth=1
	v_cmp_le_i32_e32 vcc_lo, v12, v15
	s_mov_b32 s3, 7
	s_and_b32 s21, vcc_lo, exec_lo
	s_cbranch_execz .LBB35_21
	s_branch .LBB35_22
.LBB35_19:                              ;   in Loop: Header=BB35_10 Depth=1
	s_mov_b32 s3, 2
	s_mov_b32 s21, -1
	s_branch .LBB35_22
.LBB35_20:                              ;   in Loop: Header=BB35_10 Depth=1
	s_mov_b32 s21, 0
	s_mov_b32 s3, 2
.LBB35_21:                              ;   in Loop: Header=BB35_10 Depth=1
	v_cmp_ge_i32_e32 vcc_lo, v12, v15
	s_and_not1_b32 s20, s21, exec_lo
	s_mov_b32 s3, 7
	s_and_b32 s21, vcc_lo, exec_lo
	s_delay_alu instid0(SALU_CYCLE_1)
	s_or_b32 s21, s20, s21
.LBB35_22:                              ;   in Loop: Header=BB35_10 Depth=1
	v_mov_b32_e32 v13, s3
	s_mov_b32 s22, -1
	s_and_saveexec_b32 s20, s21
	s_cbranch_execz .LBB35_5
; %bb.23:                               ;   in Loop: Header=BB35_10 Depth=1
	v_mov_b32_e32 v13, s3
	s_nor_b32 s2, s7, s19
	s_mov_b32 s19, -1
	s_and_saveexec_b32 s21, s2
	s_cbranch_execz .LBB35_25
; %bb.24:                               ;   in Loop: Header=BB35_10 Depth=1
	global_load_b32 v13, v[10:11], off offset:-4
	s_wait_loadcnt 0x0
	v_subrev_nc_u32_e32 v15, s8, v13
	v_cmp_gt_i32_e64 s3, v14, v13
	v_mov_b32_e32 v13, 6
	s_delay_alu instid0(VALU_DEP_3) | instskip(SKIP_2) | instid1(SALU_CYCLE_1)
	v_cmp_lt_i32_e32 vcc_lo, -1, v15
	v_cmp_gt_i32_e64 s2, s13, v15
	s_and_b32 s2, vcc_lo, s2
	s_xor_b32 s2, s2, -1
	s_delay_alu instid0(SALU_CYCLE_1) | instskip(NEXT) | instid1(SALU_CYCLE_1)
	s_or_b32 s2, s3, s2
	s_or_not1_b32 s22, s2, exec_lo
.LBB35_25:                              ;   in Loop: Header=BB35_10 Depth=1
	s_or_b32 exec_lo, exec_lo, s21
	s_mov_b32 s2, -1
	s_and_saveexec_b32 s3, s22
	s_cbranch_execz .LBB35_4
; %bb.26:                               ;   in Loop: Header=BB35_10 Depth=1
	v_add_nc_u64_e32 v[0:1], 32, v[0:1]
	v_add_nc_u64_e32 v[8:9], 0x80, v[8:9]
	;; [unrolled: 1-line block ×4, first 2 shown]
	s_xor_b32 s2, exec_lo, -1
	s_delay_alu instid0(VALU_DEP_4)
	v_cmp_ge_i64_e32 vcc_lo, v[0:1], v[2:3]
	s_or_not1_b32 s19, vcc_lo, exec_lo
	s_branch .LBB35_4
.LBB35_27:
	s_or_b32 exec_lo, exec_lo, s5
	s_delay_alu instid0(SALU_CYCLE_1)
	s_and_b32 s2, s9, exec_lo
.LBB35_28:
	s_or_b32 exec_lo, exec_lo, s14
	s_delay_alu instid0(SALU_CYCLE_1)
	s_or_not1_b32 s2, s2, exec_lo
.LBB35_29:
	s_or_b32 exec_lo, exec_lo, s12
	s_delay_alu instid0(SALU_CYCLE_1)
	s_and_b32 exec_lo, exec_lo, s2
	s_cbranch_execz .LBB35_31
; %bb.30:
	s_load_b64 s[0:1], s[0:1], 0x40
	v_mov_b32_e32 v0, 0
	s_wait_kmcnt 0x0
	global_store_b32 v0, v13, s[0:1]
.LBB35_31:
	s_endpgm
	.section	.rodata,"a",@progbits
	.p2align	6, 0x0
	.amdhsa_kernel _ZN9rocsparseL23check_matrix_csr_deviceILj256ELj32EfliEEvT3_S1_T2_PKT1_PKS2_PKS1_S9_21rocsparse_index_base_22rocsparse_matrix_type_20rocsparse_fill_mode_23rocsparse_storage_mode_P22rocsparse_data_status_
		.amdhsa_group_segment_fixed_size 0
		.amdhsa_private_segment_fixed_size 0
		.amdhsa_kernarg_size 72
		.amdhsa_user_sgpr_count 2
		.amdhsa_user_sgpr_dispatch_ptr 0
		.amdhsa_user_sgpr_queue_ptr 0
		.amdhsa_user_sgpr_kernarg_segment_ptr 1
		.amdhsa_user_sgpr_dispatch_id 0
		.amdhsa_user_sgpr_kernarg_preload_length 0
		.amdhsa_user_sgpr_kernarg_preload_offset 0
		.amdhsa_user_sgpr_private_segment_size 0
		.amdhsa_wavefront_size32 1
		.amdhsa_uses_dynamic_stack 0
		.amdhsa_enable_private_segment 0
		.amdhsa_system_sgpr_workgroup_id_x 1
		.amdhsa_system_sgpr_workgroup_id_y 0
		.amdhsa_system_sgpr_workgroup_id_z 0
		.amdhsa_system_sgpr_workgroup_info 0
		.amdhsa_system_vgpr_workitem_id 0
		.amdhsa_next_free_vgpr 18
		.amdhsa_next_free_sgpr 23
		.amdhsa_named_barrier_count 0
		.amdhsa_reserve_vcc 1
		.amdhsa_float_round_mode_32 0
		.amdhsa_float_round_mode_16_64 0
		.amdhsa_float_denorm_mode_32 3
		.amdhsa_float_denorm_mode_16_64 3
		.amdhsa_fp16_overflow 0
		.amdhsa_memory_ordered 1
		.amdhsa_forward_progress 1
		.amdhsa_inst_pref_size 9
		.amdhsa_round_robin_scheduling 0
		.amdhsa_exception_fp_ieee_invalid_op 0
		.amdhsa_exception_fp_denorm_src 0
		.amdhsa_exception_fp_ieee_div_zero 0
		.amdhsa_exception_fp_ieee_overflow 0
		.amdhsa_exception_fp_ieee_underflow 0
		.amdhsa_exception_fp_ieee_inexact 0
		.amdhsa_exception_int_div_zero 0
	.end_amdhsa_kernel
	.section	.text._ZN9rocsparseL23check_matrix_csr_deviceILj256ELj32EfliEEvT3_S1_T2_PKT1_PKS2_PKS1_S9_21rocsparse_index_base_22rocsparse_matrix_type_20rocsparse_fill_mode_23rocsparse_storage_mode_P22rocsparse_data_status_,"axG",@progbits,_ZN9rocsparseL23check_matrix_csr_deviceILj256ELj32EfliEEvT3_S1_T2_PKT1_PKS2_PKS1_S9_21rocsparse_index_base_22rocsparse_matrix_type_20rocsparse_fill_mode_23rocsparse_storage_mode_P22rocsparse_data_status_,comdat
.Lfunc_end35:
	.size	_ZN9rocsparseL23check_matrix_csr_deviceILj256ELj32EfliEEvT3_S1_T2_PKT1_PKS2_PKS1_S9_21rocsparse_index_base_22rocsparse_matrix_type_20rocsparse_fill_mode_23rocsparse_storage_mode_P22rocsparse_data_status_, .Lfunc_end35-_ZN9rocsparseL23check_matrix_csr_deviceILj256ELj32EfliEEvT3_S1_T2_PKT1_PKS2_PKS1_S9_21rocsparse_index_base_22rocsparse_matrix_type_20rocsparse_fill_mode_23rocsparse_storage_mode_P22rocsparse_data_status_
                                        ; -- End function
	.set _ZN9rocsparseL23check_matrix_csr_deviceILj256ELj32EfliEEvT3_S1_T2_PKT1_PKS2_PKS1_S9_21rocsparse_index_base_22rocsparse_matrix_type_20rocsparse_fill_mode_23rocsparse_storage_mode_P22rocsparse_data_status_.num_vgpr, 18
	.set _ZN9rocsparseL23check_matrix_csr_deviceILj256ELj32EfliEEvT3_S1_T2_PKT1_PKS2_PKS1_S9_21rocsparse_index_base_22rocsparse_matrix_type_20rocsparse_fill_mode_23rocsparse_storage_mode_P22rocsparse_data_status_.num_agpr, 0
	.set _ZN9rocsparseL23check_matrix_csr_deviceILj256ELj32EfliEEvT3_S1_T2_PKT1_PKS2_PKS1_S9_21rocsparse_index_base_22rocsparse_matrix_type_20rocsparse_fill_mode_23rocsparse_storage_mode_P22rocsparse_data_status_.numbered_sgpr, 23
	.set _ZN9rocsparseL23check_matrix_csr_deviceILj256ELj32EfliEEvT3_S1_T2_PKT1_PKS2_PKS1_S9_21rocsparse_index_base_22rocsparse_matrix_type_20rocsparse_fill_mode_23rocsparse_storage_mode_P22rocsparse_data_status_.num_named_barrier, 0
	.set _ZN9rocsparseL23check_matrix_csr_deviceILj256ELj32EfliEEvT3_S1_T2_PKT1_PKS2_PKS1_S9_21rocsparse_index_base_22rocsparse_matrix_type_20rocsparse_fill_mode_23rocsparse_storage_mode_P22rocsparse_data_status_.private_seg_size, 0
	.set _ZN9rocsparseL23check_matrix_csr_deviceILj256ELj32EfliEEvT3_S1_T2_PKT1_PKS2_PKS1_S9_21rocsparse_index_base_22rocsparse_matrix_type_20rocsparse_fill_mode_23rocsparse_storage_mode_P22rocsparse_data_status_.uses_vcc, 1
	.set _ZN9rocsparseL23check_matrix_csr_deviceILj256ELj32EfliEEvT3_S1_T2_PKT1_PKS2_PKS1_S9_21rocsparse_index_base_22rocsparse_matrix_type_20rocsparse_fill_mode_23rocsparse_storage_mode_P22rocsparse_data_status_.uses_flat_scratch, 0
	.set _ZN9rocsparseL23check_matrix_csr_deviceILj256ELj32EfliEEvT3_S1_T2_PKT1_PKS2_PKS1_S9_21rocsparse_index_base_22rocsparse_matrix_type_20rocsparse_fill_mode_23rocsparse_storage_mode_P22rocsparse_data_status_.has_dyn_sized_stack, 0
	.set _ZN9rocsparseL23check_matrix_csr_deviceILj256ELj32EfliEEvT3_S1_T2_PKT1_PKS2_PKS1_S9_21rocsparse_index_base_22rocsparse_matrix_type_20rocsparse_fill_mode_23rocsparse_storage_mode_P22rocsparse_data_status_.has_recursion, 0
	.set _ZN9rocsparseL23check_matrix_csr_deviceILj256ELj32EfliEEvT3_S1_T2_PKT1_PKS2_PKS1_S9_21rocsparse_index_base_22rocsparse_matrix_type_20rocsparse_fill_mode_23rocsparse_storage_mode_P22rocsparse_data_status_.has_indirect_call, 0
	.section	.AMDGPU.csdata,"",@progbits
; Kernel info:
; codeLenInByte = 1028
; TotalNumSgprs: 25
; NumVgprs: 18
; ScratchSize: 0
; MemoryBound: 0
; FloatMode: 240
; IeeeMode: 1
; LDSByteSize: 0 bytes/workgroup (compile time only)
; SGPRBlocks: 0
; VGPRBlocks: 1
; NumSGPRsForWavesPerEU: 25
; NumVGPRsForWavesPerEU: 18
; NamedBarCnt: 0
; Occupancy: 16
; WaveLimiterHint : 0
; COMPUTE_PGM_RSRC2:SCRATCH_EN: 0
; COMPUTE_PGM_RSRC2:USER_SGPR: 2
; COMPUTE_PGM_RSRC2:TRAP_HANDLER: 0
; COMPUTE_PGM_RSRC2:TGID_X_EN: 1
; COMPUTE_PGM_RSRC2:TGID_Y_EN: 0
; COMPUTE_PGM_RSRC2:TGID_Z_EN: 0
; COMPUTE_PGM_RSRC2:TIDIG_COMP_CNT: 0
	.section	.text._ZN9rocsparseL23check_matrix_csr_deviceILj256ELj64EfliEEvT3_S1_T2_PKT1_PKS2_PKS1_S9_21rocsparse_index_base_22rocsparse_matrix_type_20rocsparse_fill_mode_23rocsparse_storage_mode_P22rocsparse_data_status_,"axG",@progbits,_ZN9rocsparseL23check_matrix_csr_deviceILj256ELj64EfliEEvT3_S1_T2_PKT1_PKS2_PKS1_S9_21rocsparse_index_base_22rocsparse_matrix_type_20rocsparse_fill_mode_23rocsparse_storage_mode_P22rocsparse_data_status_,comdat
	.globl	_ZN9rocsparseL23check_matrix_csr_deviceILj256ELj64EfliEEvT3_S1_T2_PKT1_PKS2_PKS1_S9_21rocsparse_index_base_22rocsparse_matrix_type_20rocsparse_fill_mode_23rocsparse_storage_mode_P22rocsparse_data_status_ ; -- Begin function _ZN9rocsparseL23check_matrix_csr_deviceILj256ELj64EfliEEvT3_S1_T2_PKT1_PKS2_PKS1_S9_21rocsparse_index_base_22rocsparse_matrix_type_20rocsparse_fill_mode_23rocsparse_storage_mode_P22rocsparse_data_status_
	.p2align	8
	.type	_ZN9rocsparseL23check_matrix_csr_deviceILj256ELj64EfliEEvT3_S1_T2_PKT1_PKS2_PKS1_S9_21rocsparse_index_base_22rocsparse_matrix_type_20rocsparse_fill_mode_23rocsparse_storage_mode_P22rocsparse_data_status_,@function
_ZN9rocsparseL23check_matrix_csr_deviceILj256ELj64EfliEEvT3_S1_T2_PKT1_PKS2_PKS1_S9_21rocsparse_index_base_22rocsparse_matrix_type_20rocsparse_fill_mode_23rocsparse_storage_mode_P22rocsparse_data_status_: ; @_ZN9rocsparseL23check_matrix_csr_deviceILj256ELj64EfliEEvT3_S1_T2_PKT1_PKS2_PKS1_S9_21rocsparse_index_base_22rocsparse_matrix_type_20rocsparse_fill_mode_23rocsparse_storage_mode_P22rocsparse_data_status_
; %bb.0:
	s_bfe_u32 s2, ttmp6, 0x4000c
	s_load_b64 s[12:13], s[0:1], 0x0
	s_add_co_i32 s2, s2, 1
	s_and_b32 s3, ttmp6, 15
	s_mul_i32 s2, ttmp9, s2
	s_getreg_b32 s4, hwreg(HW_REG_IB_STS2, 6, 4)
	s_add_co_i32 s3, s3, s2
	s_cmp_eq_u32 s4, 0
	s_cselect_b32 s2, ttmp9, s3
	s_delay_alu instid0(SALU_CYCLE_1) | instskip(SKIP_1) | instid1(VALU_DEP_1)
	v_lshl_or_b32 v1, s2, 8, v0
	s_mov_b32 s2, exec_lo
	v_lshrrev_b32_e32 v12, 6, v1
	s_wait_kmcnt 0x0
	s_delay_alu instid0(VALU_DEP_1)
	v_cmpx_gt_i32_e64 s12, v12
	s_cbranch_execz .LBB36_31
; %bb.1:
	s_load_b64 s[2:3], s[0:1], 0x18
	v_dual_lshlrev_b32 v1, 3, v12 :: v_dual_mov_b32 v13, 3
	s_wait_kmcnt 0x0
	global_load_b128 v[6:9], v1, s[2:3]
	s_wait_xcnt 0x0
	s_load_b64 s[2:3], s[2:3], 0x0
	s_wait_loadcnt 0x0
	s_wait_kmcnt 0x0
	v_sub_nc_u64_e64 v[2:3], v[8:9], s[2:3]
	v_sub_nc_u64_e64 v[4:5], v[6:7], s[2:3]
	v_cmp_lt_i64_e64 s2, v[8:9], v[6:7]
	s_delay_alu instid0(VALU_DEP_3) | instskip(NEXT) | instid1(VALU_DEP_3)
	v_cmp_gt_i64_e32 vcc_lo, 0, v[2:3]
	v_cmp_lt_i64_e64 s3, -1, v[4:5]
	s_or_b32 s2, vcc_lo, s2
	s_delay_alu instid0(SALU_CYCLE_1) | instskip(SKIP_2) | instid1(SALU_CYCLE_1)
	s_xor_b32 s4, s2, -1
	s_mov_b32 s2, -1
	s_and_b32 s3, s3, s4
	s_and_saveexec_b32 s12, s3
	s_cbranch_execz .LBB36_29
; %bb.2:
	v_dual_mov_b32 v1, 0 :: v_dual_bitop2_b32 v0, 63, v0 bitop3:0x40
	v_mov_b32_e32 v13, 3
	s_mov_b32 s2, 0
	s_mov_b32 s14, exec_lo
	s_delay_alu instid0(VALU_DEP_2) | instskip(NEXT) | instid1(VALU_DEP_1)
	v_add_nc_u64_e32 v[0:1], v[4:5], v[0:1]
	v_cmpx_lt_u64_e64 v[0:1], v[2:3]
	s_cbranch_execz .LBB36_28
; %bb.3:
	s_clause 0x1
	s_load_b256 s[4:11], s[0:1], 0x20
	s_load_b64 s[2:3], s[0:1], 0x10
	v_lshlrev_b64_e32 v[10:11], 2, v[0:1]
	s_wait_kmcnt 0x0
	s_delay_alu instid0(VALU_DEP_1)
	v_add_nc_u64_e32 v[8:9], s[6:7], v[10:11]
	s_cmp_lg_u32 s9, 0
	v_add_nc_u64_e32 v[6:7], s[2:3], v[10:11]
	v_add_nc_u64_e32 v[10:11], s[4:5], v[10:11]
	s_cselect_b32 s6, -1, 0
	s_cmp_lg_u32 s10, 0
	s_mov_b32 s5, 0
	v_add_nc_u64_e32 v[8:9], -4, v[8:9]
	s_cselect_b32 s4, -1, 0
	s_cmp_lg_u32 s11, 0
                                        ; implicit-def: $sgpr9
                                        ; implicit-def: $sgpr10
                                        ; implicit-def: $sgpr11
	s_cselect_b32 s7, -1, 0
	s_branch .LBB36_10
.LBB36_4:                               ;   in Loop: Header=BB36_10 Depth=1
	s_or_b32 exec_lo, exec_lo, s3
	s_delay_alu instid0(SALU_CYCLE_1)
	s_or_not1_b32 s22, s2, exec_lo
	s_or_not1_b32 s2, s19, exec_lo
.LBB36_5:                               ;   in Loop: Header=BB36_10 Depth=1
	s_or_b32 exec_lo, exec_lo, s20
	s_delay_alu instid0(SALU_CYCLE_1)
	s_or_not1_b32 s3, s22, exec_lo
	s_or_not1_b32 s2, s2, exec_lo
.LBB36_6:                               ;   in Loop: Header=BB36_10 Depth=1
	s_or_b32 exec_lo, exec_lo, s18
	s_delay_alu instid0(SALU_CYCLE_1)
	s_or_not1_b32 s3, s3, exec_lo
	s_or_not1_b32 s2, s2, exec_lo
.LBB36_7:                               ;   in Loop: Header=BB36_10 Depth=1
	s_or_b32 exec_lo, exec_lo, s17
	s_delay_alu instid0(SALU_CYCLE_1)
	s_or_not1_b32 s3, s3, exec_lo
	s_or_not1_b32 s2, s2, exec_lo
.LBB36_8:                               ;   in Loop: Header=BB36_10 Depth=1
	s_or_b32 exec_lo, exec_lo, s16
	s_delay_alu instid0(SALU_CYCLE_1)
	s_and_not1_b32 s11, s11, exec_lo
	s_and_b32 s3, s3, exec_lo
	s_and_not1_b32 s10, s10, exec_lo
	s_and_b32 s2, s2, exec_lo
	s_or_b32 s11, s11, s3
	s_or_b32 s10, s10, s2
.LBB36_9:                               ;   in Loop: Header=BB36_10 Depth=1
	s_or_b32 exec_lo, exec_lo, s15
	s_delay_alu instid0(SALU_CYCLE_1) | instskip(NEXT) | instid1(SALU_CYCLE_1)
	s_and_b32 s2, exec_lo, s10
	s_or_b32 s5, s2, s5
	s_and_not1_b32 s2, s9, exec_lo
	s_and_b32 s3, s11, exec_lo
	s_delay_alu instid0(SALU_CYCLE_1)
	s_or_b32 s9, s2, s3
	s_and_not1_b32 exec_lo, exec_lo, s5
	s_cbranch_execz .LBB36_27
.LBB36_10:                              ; =>This Inner Loop Header: Depth=1
	global_load_b32 v14, v[10:11], off
	v_mov_b32_e32 v13, 4
	s_or_b32 s11, s11, exec_lo
	s_or_b32 s10, s10, exec_lo
	s_wait_loadcnt 0x0
	v_subrev_nc_u32_e32 v15, s8, v14
	s_delay_alu instid0(VALU_DEP_1) | instskip(SKIP_2) | instid1(SALU_CYCLE_1)
	v_cmp_lt_i32_e32 vcc_lo, -1, v15
	v_cmp_gt_i32_e64 s2, s13, v15
	s_and_b32 s2, vcc_lo, s2
	s_and_saveexec_b32 s15, s2
	s_cbranch_execz .LBB36_9
; %bb.11:                               ;   in Loop: Header=BB36_10 Depth=1
	v_cmp_le_i64_e64 s19, v[0:1], v[4:5]
	v_mov_b32_e32 v13, 4
	s_mov_b32 s16, exec_lo
	s_mov_b32 s17, s19
	v_cmpx_gt_i64_e64 v[0:1], v[4:5]
	s_cbranch_execz .LBB36_13
; %bb.12:                               ;   in Loop: Header=BB36_10 Depth=1
	global_load_b64 v[16:17], v[8:9], off
	s_wait_loadcnt 0x0
	v_subrev_nc_u32_e32 v13, s8, v16
	v_cmp_ne_u32_e64 s3, v17, v16
	s_delay_alu instid0(VALU_DEP_2) | instskip(SKIP_3) | instid1(SALU_CYCLE_1)
	v_cmp_lt_i32_e32 vcc_lo, -1, v13
	v_cmp_gt_i32_e64 s2, s13, v13
	v_mov_b32_e32 v13, 5
	s_and_b32 s2, vcc_lo, s2
	s_xor_b32 s2, s2, -1
	s_delay_alu instid0(SALU_CYCLE_1) | instskip(SKIP_2) | instid1(SALU_CYCLE_1)
	s_or_b32 s2, s3, s2
	s_and_not1_b32 s3, s19, exec_lo
	s_and_b32 s2, s2, exec_lo
	s_or_b32 s17, s3, s2
.LBB36_13:                              ;   in Loop: Header=BB36_10 Depth=1
	s_or_b32 exec_lo, exec_lo, s16
	s_mov_b32 s2, -1
	s_mov_b32 s3, -1
	s_and_saveexec_b32 s16, s17
	s_cbranch_execz .LBB36_8
; %bb.14:                               ;   in Loop: Header=BB36_10 Depth=1
	global_load_b32 v16, v[6:7], off
	v_mov_b32_e32 v13, 1
	s_mov_b32 s17, exec_lo
	s_wait_loadcnt 0x0
	v_cmpx_neq_f32_e32 0x7f800000, v16
	s_cbranch_execz .LBB36_7
; %bb.15:                               ;   in Loop: Header=BB36_10 Depth=1
	v_mov_b32_e32 v13, 2
	s_mov_b32 s18, exec_lo
	v_cmpx_o_f32_e32 v16, v16
	s_cbranch_execz .LBB36_6
; %bb.16:                               ;   in Loop: Header=BB36_10 Depth=1
	s_and_b32 vcc_lo, exec_lo, s6
	s_cbranch_vccz .LBB36_19
; %bb.17:                               ;   in Loop: Header=BB36_10 Depth=1
	s_and_b32 vcc_lo, exec_lo, s4
	s_cbranch_vccz .LBB36_20
; %bb.18:                               ;   in Loop: Header=BB36_10 Depth=1
	v_cmp_le_i32_e32 vcc_lo, v12, v15
	s_mov_b32 s3, 7
	s_and_b32 s21, vcc_lo, exec_lo
	s_cbranch_execz .LBB36_21
	s_branch .LBB36_22
.LBB36_19:                              ;   in Loop: Header=BB36_10 Depth=1
	s_mov_b32 s3, 2
	s_mov_b32 s21, -1
	s_branch .LBB36_22
.LBB36_20:                              ;   in Loop: Header=BB36_10 Depth=1
	s_mov_b32 s21, 0
	s_mov_b32 s3, 2
.LBB36_21:                              ;   in Loop: Header=BB36_10 Depth=1
	v_cmp_ge_i32_e32 vcc_lo, v12, v15
	s_and_not1_b32 s20, s21, exec_lo
	s_mov_b32 s3, 7
	s_and_b32 s21, vcc_lo, exec_lo
	s_delay_alu instid0(SALU_CYCLE_1)
	s_or_b32 s21, s20, s21
.LBB36_22:                              ;   in Loop: Header=BB36_10 Depth=1
	v_mov_b32_e32 v13, s3
	s_mov_b32 s22, -1
	s_and_saveexec_b32 s20, s21
	s_cbranch_execz .LBB36_5
; %bb.23:                               ;   in Loop: Header=BB36_10 Depth=1
	v_mov_b32_e32 v13, s3
	s_nor_b32 s2, s7, s19
	s_mov_b32 s19, -1
	s_and_saveexec_b32 s21, s2
	s_cbranch_execz .LBB36_25
; %bb.24:                               ;   in Loop: Header=BB36_10 Depth=1
	global_load_b32 v13, v[10:11], off offset:-4
	s_wait_loadcnt 0x0
	v_subrev_nc_u32_e32 v15, s8, v13
	v_cmp_gt_i32_e64 s3, v14, v13
	v_mov_b32_e32 v13, 6
	s_delay_alu instid0(VALU_DEP_3) | instskip(SKIP_2) | instid1(SALU_CYCLE_1)
	v_cmp_lt_i32_e32 vcc_lo, -1, v15
	v_cmp_gt_i32_e64 s2, s13, v15
	s_and_b32 s2, vcc_lo, s2
	s_xor_b32 s2, s2, -1
	s_delay_alu instid0(SALU_CYCLE_1) | instskip(NEXT) | instid1(SALU_CYCLE_1)
	s_or_b32 s2, s3, s2
	s_or_not1_b32 s22, s2, exec_lo
.LBB36_25:                              ;   in Loop: Header=BB36_10 Depth=1
	s_or_b32 exec_lo, exec_lo, s21
	s_mov_b32 s2, -1
	s_and_saveexec_b32 s3, s22
	s_cbranch_execz .LBB36_4
; %bb.26:                               ;   in Loop: Header=BB36_10 Depth=1
	v_add_nc_u64_e32 v[0:1], 64, v[0:1]
	v_add_nc_u64_e32 v[8:9], 0x100, v[8:9]
	;; [unrolled: 1-line block ×4, first 2 shown]
	s_xor_b32 s2, exec_lo, -1
	s_delay_alu instid0(VALU_DEP_4)
	v_cmp_ge_i64_e32 vcc_lo, v[0:1], v[2:3]
	s_or_not1_b32 s19, vcc_lo, exec_lo
	s_branch .LBB36_4
.LBB36_27:
	s_or_b32 exec_lo, exec_lo, s5
	s_delay_alu instid0(SALU_CYCLE_1)
	s_and_b32 s2, s9, exec_lo
.LBB36_28:
	s_or_b32 exec_lo, exec_lo, s14
	s_delay_alu instid0(SALU_CYCLE_1)
	s_or_not1_b32 s2, s2, exec_lo
.LBB36_29:
	s_or_b32 exec_lo, exec_lo, s12
	s_delay_alu instid0(SALU_CYCLE_1)
	s_and_b32 exec_lo, exec_lo, s2
	s_cbranch_execz .LBB36_31
; %bb.30:
	s_load_b64 s[0:1], s[0:1], 0x40
	v_mov_b32_e32 v0, 0
	s_wait_kmcnt 0x0
	global_store_b32 v0, v13, s[0:1]
.LBB36_31:
	s_endpgm
	.section	.rodata,"a",@progbits
	.p2align	6, 0x0
	.amdhsa_kernel _ZN9rocsparseL23check_matrix_csr_deviceILj256ELj64EfliEEvT3_S1_T2_PKT1_PKS2_PKS1_S9_21rocsparse_index_base_22rocsparse_matrix_type_20rocsparse_fill_mode_23rocsparse_storage_mode_P22rocsparse_data_status_
		.amdhsa_group_segment_fixed_size 0
		.amdhsa_private_segment_fixed_size 0
		.amdhsa_kernarg_size 72
		.amdhsa_user_sgpr_count 2
		.amdhsa_user_sgpr_dispatch_ptr 0
		.amdhsa_user_sgpr_queue_ptr 0
		.amdhsa_user_sgpr_kernarg_segment_ptr 1
		.amdhsa_user_sgpr_dispatch_id 0
		.amdhsa_user_sgpr_kernarg_preload_length 0
		.amdhsa_user_sgpr_kernarg_preload_offset 0
		.amdhsa_user_sgpr_private_segment_size 0
		.amdhsa_wavefront_size32 1
		.amdhsa_uses_dynamic_stack 0
		.amdhsa_enable_private_segment 0
		.amdhsa_system_sgpr_workgroup_id_x 1
		.amdhsa_system_sgpr_workgroup_id_y 0
		.amdhsa_system_sgpr_workgroup_id_z 0
		.amdhsa_system_sgpr_workgroup_info 0
		.amdhsa_system_vgpr_workitem_id 0
		.amdhsa_next_free_vgpr 18
		.amdhsa_next_free_sgpr 23
		.amdhsa_named_barrier_count 0
		.amdhsa_reserve_vcc 1
		.amdhsa_float_round_mode_32 0
		.amdhsa_float_round_mode_16_64 0
		.amdhsa_float_denorm_mode_32 3
		.amdhsa_float_denorm_mode_16_64 3
		.amdhsa_fp16_overflow 0
		.amdhsa_memory_ordered 1
		.amdhsa_forward_progress 1
		.amdhsa_inst_pref_size 9
		.amdhsa_round_robin_scheduling 0
		.amdhsa_exception_fp_ieee_invalid_op 0
		.amdhsa_exception_fp_denorm_src 0
		.amdhsa_exception_fp_ieee_div_zero 0
		.amdhsa_exception_fp_ieee_overflow 0
		.amdhsa_exception_fp_ieee_underflow 0
		.amdhsa_exception_fp_ieee_inexact 0
		.amdhsa_exception_int_div_zero 0
	.end_amdhsa_kernel
	.section	.text._ZN9rocsparseL23check_matrix_csr_deviceILj256ELj64EfliEEvT3_S1_T2_PKT1_PKS2_PKS1_S9_21rocsparse_index_base_22rocsparse_matrix_type_20rocsparse_fill_mode_23rocsparse_storage_mode_P22rocsparse_data_status_,"axG",@progbits,_ZN9rocsparseL23check_matrix_csr_deviceILj256ELj64EfliEEvT3_S1_T2_PKT1_PKS2_PKS1_S9_21rocsparse_index_base_22rocsparse_matrix_type_20rocsparse_fill_mode_23rocsparse_storage_mode_P22rocsparse_data_status_,comdat
.Lfunc_end36:
	.size	_ZN9rocsparseL23check_matrix_csr_deviceILj256ELj64EfliEEvT3_S1_T2_PKT1_PKS2_PKS1_S9_21rocsparse_index_base_22rocsparse_matrix_type_20rocsparse_fill_mode_23rocsparse_storage_mode_P22rocsparse_data_status_, .Lfunc_end36-_ZN9rocsparseL23check_matrix_csr_deviceILj256ELj64EfliEEvT3_S1_T2_PKT1_PKS2_PKS1_S9_21rocsparse_index_base_22rocsparse_matrix_type_20rocsparse_fill_mode_23rocsparse_storage_mode_P22rocsparse_data_status_
                                        ; -- End function
	.set _ZN9rocsparseL23check_matrix_csr_deviceILj256ELj64EfliEEvT3_S1_T2_PKT1_PKS2_PKS1_S9_21rocsparse_index_base_22rocsparse_matrix_type_20rocsparse_fill_mode_23rocsparse_storage_mode_P22rocsparse_data_status_.num_vgpr, 18
	.set _ZN9rocsparseL23check_matrix_csr_deviceILj256ELj64EfliEEvT3_S1_T2_PKT1_PKS2_PKS1_S9_21rocsparse_index_base_22rocsparse_matrix_type_20rocsparse_fill_mode_23rocsparse_storage_mode_P22rocsparse_data_status_.num_agpr, 0
	.set _ZN9rocsparseL23check_matrix_csr_deviceILj256ELj64EfliEEvT3_S1_T2_PKT1_PKS2_PKS1_S9_21rocsparse_index_base_22rocsparse_matrix_type_20rocsparse_fill_mode_23rocsparse_storage_mode_P22rocsparse_data_status_.numbered_sgpr, 23
	.set _ZN9rocsparseL23check_matrix_csr_deviceILj256ELj64EfliEEvT3_S1_T2_PKT1_PKS2_PKS1_S9_21rocsparse_index_base_22rocsparse_matrix_type_20rocsparse_fill_mode_23rocsparse_storage_mode_P22rocsparse_data_status_.num_named_barrier, 0
	.set _ZN9rocsparseL23check_matrix_csr_deviceILj256ELj64EfliEEvT3_S1_T2_PKT1_PKS2_PKS1_S9_21rocsparse_index_base_22rocsparse_matrix_type_20rocsparse_fill_mode_23rocsparse_storage_mode_P22rocsparse_data_status_.private_seg_size, 0
	.set _ZN9rocsparseL23check_matrix_csr_deviceILj256ELj64EfliEEvT3_S1_T2_PKT1_PKS2_PKS1_S9_21rocsparse_index_base_22rocsparse_matrix_type_20rocsparse_fill_mode_23rocsparse_storage_mode_P22rocsparse_data_status_.uses_vcc, 1
	.set _ZN9rocsparseL23check_matrix_csr_deviceILj256ELj64EfliEEvT3_S1_T2_PKT1_PKS2_PKS1_S9_21rocsparse_index_base_22rocsparse_matrix_type_20rocsparse_fill_mode_23rocsparse_storage_mode_P22rocsparse_data_status_.uses_flat_scratch, 0
	.set _ZN9rocsparseL23check_matrix_csr_deviceILj256ELj64EfliEEvT3_S1_T2_PKT1_PKS2_PKS1_S9_21rocsparse_index_base_22rocsparse_matrix_type_20rocsparse_fill_mode_23rocsparse_storage_mode_P22rocsparse_data_status_.has_dyn_sized_stack, 0
	.set _ZN9rocsparseL23check_matrix_csr_deviceILj256ELj64EfliEEvT3_S1_T2_PKT1_PKS2_PKS1_S9_21rocsparse_index_base_22rocsparse_matrix_type_20rocsparse_fill_mode_23rocsparse_storage_mode_P22rocsparse_data_status_.has_recursion, 0
	.set _ZN9rocsparseL23check_matrix_csr_deviceILj256ELj64EfliEEvT3_S1_T2_PKT1_PKS2_PKS1_S9_21rocsparse_index_base_22rocsparse_matrix_type_20rocsparse_fill_mode_23rocsparse_storage_mode_P22rocsparse_data_status_.has_indirect_call, 0
	.section	.AMDGPU.csdata,"",@progbits
; Kernel info:
; codeLenInByte = 1028
; TotalNumSgprs: 25
; NumVgprs: 18
; ScratchSize: 0
; MemoryBound: 0
; FloatMode: 240
; IeeeMode: 1
; LDSByteSize: 0 bytes/workgroup (compile time only)
; SGPRBlocks: 0
; VGPRBlocks: 1
; NumSGPRsForWavesPerEU: 25
; NumVGPRsForWavesPerEU: 18
; NamedBarCnt: 0
; Occupancy: 16
; WaveLimiterHint : 0
; COMPUTE_PGM_RSRC2:SCRATCH_EN: 0
; COMPUTE_PGM_RSRC2:USER_SGPR: 2
; COMPUTE_PGM_RSRC2:TRAP_HANDLER: 0
; COMPUTE_PGM_RSRC2:TGID_X_EN: 1
; COMPUTE_PGM_RSRC2:TGID_Y_EN: 0
; COMPUTE_PGM_RSRC2:TGID_Z_EN: 0
; COMPUTE_PGM_RSRC2:TIDIG_COMP_CNT: 0
	.section	.text._ZN9rocsparseL23check_matrix_csr_deviceILj256ELj128EfliEEvT3_S1_T2_PKT1_PKS2_PKS1_S9_21rocsparse_index_base_22rocsparse_matrix_type_20rocsparse_fill_mode_23rocsparse_storage_mode_P22rocsparse_data_status_,"axG",@progbits,_ZN9rocsparseL23check_matrix_csr_deviceILj256ELj128EfliEEvT3_S1_T2_PKT1_PKS2_PKS1_S9_21rocsparse_index_base_22rocsparse_matrix_type_20rocsparse_fill_mode_23rocsparse_storage_mode_P22rocsparse_data_status_,comdat
	.globl	_ZN9rocsparseL23check_matrix_csr_deviceILj256ELj128EfliEEvT3_S1_T2_PKT1_PKS2_PKS1_S9_21rocsparse_index_base_22rocsparse_matrix_type_20rocsparse_fill_mode_23rocsparse_storage_mode_P22rocsparse_data_status_ ; -- Begin function _ZN9rocsparseL23check_matrix_csr_deviceILj256ELj128EfliEEvT3_S1_T2_PKT1_PKS2_PKS1_S9_21rocsparse_index_base_22rocsparse_matrix_type_20rocsparse_fill_mode_23rocsparse_storage_mode_P22rocsparse_data_status_
	.p2align	8
	.type	_ZN9rocsparseL23check_matrix_csr_deviceILj256ELj128EfliEEvT3_S1_T2_PKT1_PKS2_PKS1_S9_21rocsparse_index_base_22rocsparse_matrix_type_20rocsparse_fill_mode_23rocsparse_storage_mode_P22rocsparse_data_status_,@function
_ZN9rocsparseL23check_matrix_csr_deviceILj256ELj128EfliEEvT3_S1_T2_PKT1_PKS2_PKS1_S9_21rocsparse_index_base_22rocsparse_matrix_type_20rocsparse_fill_mode_23rocsparse_storage_mode_P22rocsparse_data_status_: ; @_ZN9rocsparseL23check_matrix_csr_deviceILj256ELj128EfliEEvT3_S1_T2_PKT1_PKS2_PKS1_S9_21rocsparse_index_base_22rocsparse_matrix_type_20rocsparse_fill_mode_23rocsparse_storage_mode_P22rocsparse_data_status_
; %bb.0:
	s_bfe_u32 s2, ttmp6, 0x4000c
	s_load_b64 s[12:13], s[0:1], 0x0
	s_add_co_i32 s2, s2, 1
	s_and_b32 s3, ttmp6, 15
	s_mul_i32 s2, ttmp9, s2
	s_getreg_b32 s4, hwreg(HW_REG_IB_STS2, 6, 4)
	s_add_co_i32 s3, s3, s2
	s_cmp_eq_u32 s4, 0
	s_cselect_b32 s2, ttmp9, s3
	s_delay_alu instid0(SALU_CYCLE_1) | instskip(SKIP_1) | instid1(VALU_DEP_1)
	v_lshl_or_b32 v1, s2, 8, v0
	s_mov_b32 s2, exec_lo
	v_lshrrev_b32_e32 v12, 7, v1
	s_wait_kmcnt 0x0
	s_delay_alu instid0(VALU_DEP_1)
	v_cmpx_gt_i32_e64 s12, v12
	s_cbranch_execz .LBB37_31
; %bb.1:
	s_load_b64 s[2:3], s[0:1], 0x18
	v_dual_lshlrev_b32 v1, 3, v12 :: v_dual_mov_b32 v13, 3
	s_wait_kmcnt 0x0
	global_load_b128 v[6:9], v1, s[2:3]
	s_wait_xcnt 0x0
	s_load_b64 s[2:3], s[2:3], 0x0
	s_wait_loadcnt 0x0
	s_wait_kmcnt 0x0
	v_sub_nc_u64_e64 v[2:3], v[8:9], s[2:3]
	v_sub_nc_u64_e64 v[4:5], v[6:7], s[2:3]
	v_cmp_lt_i64_e64 s2, v[8:9], v[6:7]
	s_delay_alu instid0(VALU_DEP_3) | instskip(NEXT) | instid1(VALU_DEP_3)
	v_cmp_gt_i64_e32 vcc_lo, 0, v[2:3]
	v_cmp_lt_i64_e64 s3, -1, v[4:5]
	s_or_b32 s2, vcc_lo, s2
	s_delay_alu instid0(SALU_CYCLE_1) | instskip(SKIP_2) | instid1(SALU_CYCLE_1)
	s_xor_b32 s4, s2, -1
	s_mov_b32 s2, -1
	s_and_b32 s3, s3, s4
	s_and_saveexec_b32 s12, s3
	s_cbranch_execz .LBB37_29
; %bb.2:
	v_and_b32_e32 v0, 0x7f, v0
	v_dual_mov_b32 v1, 0 :: v_dual_mov_b32 v13, 3
	s_mov_b32 s2, 0
	s_mov_b32 s14, exec_lo
	s_delay_alu instid0(VALU_DEP_1) | instskip(NEXT) | instid1(VALU_DEP_1)
	v_add_nc_u64_e32 v[0:1], v[4:5], v[0:1]
	v_cmpx_lt_u64_e64 v[0:1], v[2:3]
	s_cbranch_execz .LBB37_28
; %bb.3:
	s_clause 0x1
	s_load_b256 s[4:11], s[0:1], 0x20
	s_load_b64 s[2:3], s[0:1], 0x10
	v_lshlrev_b64_e32 v[10:11], 2, v[0:1]
	s_wait_kmcnt 0x0
	s_delay_alu instid0(VALU_DEP_1)
	v_add_nc_u64_e32 v[8:9], s[6:7], v[10:11]
	s_cmp_lg_u32 s9, 0
	v_add_nc_u64_e32 v[6:7], s[2:3], v[10:11]
	v_add_nc_u64_e32 v[10:11], s[4:5], v[10:11]
	s_cselect_b32 s6, -1, 0
	s_cmp_lg_u32 s10, 0
	s_mov_b32 s5, 0
	v_add_nc_u64_e32 v[8:9], -4, v[8:9]
	s_cselect_b32 s4, -1, 0
	s_cmp_lg_u32 s11, 0
                                        ; implicit-def: $sgpr9
                                        ; implicit-def: $sgpr10
                                        ; implicit-def: $sgpr11
	s_cselect_b32 s7, -1, 0
	s_branch .LBB37_10
.LBB37_4:                               ;   in Loop: Header=BB37_10 Depth=1
	s_or_b32 exec_lo, exec_lo, s3
	s_delay_alu instid0(SALU_CYCLE_1)
	s_or_not1_b32 s22, s2, exec_lo
	s_or_not1_b32 s2, s19, exec_lo
.LBB37_5:                               ;   in Loop: Header=BB37_10 Depth=1
	s_or_b32 exec_lo, exec_lo, s20
	s_delay_alu instid0(SALU_CYCLE_1)
	s_or_not1_b32 s3, s22, exec_lo
	s_or_not1_b32 s2, s2, exec_lo
.LBB37_6:                               ;   in Loop: Header=BB37_10 Depth=1
	s_or_b32 exec_lo, exec_lo, s18
	s_delay_alu instid0(SALU_CYCLE_1)
	s_or_not1_b32 s3, s3, exec_lo
	s_or_not1_b32 s2, s2, exec_lo
.LBB37_7:                               ;   in Loop: Header=BB37_10 Depth=1
	s_or_b32 exec_lo, exec_lo, s17
	s_delay_alu instid0(SALU_CYCLE_1)
	s_or_not1_b32 s3, s3, exec_lo
	s_or_not1_b32 s2, s2, exec_lo
.LBB37_8:                               ;   in Loop: Header=BB37_10 Depth=1
	s_or_b32 exec_lo, exec_lo, s16
	s_delay_alu instid0(SALU_CYCLE_1)
	s_and_not1_b32 s11, s11, exec_lo
	s_and_b32 s3, s3, exec_lo
	s_and_not1_b32 s10, s10, exec_lo
	s_and_b32 s2, s2, exec_lo
	s_or_b32 s11, s11, s3
	s_or_b32 s10, s10, s2
.LBB37_9:                               ;   in Loop: Header=BB37_10 Depth=1
	s_or_b32 exec_lo, exec_lo, s15
	s_delay_alu instid0(SALU_CYCLE_1) | instskip(NEXT) | instid1(SALU_CYCLE_1)
	s_and_b32 s2, exec_lo, s10
	s_or_b32 s5, s2, s5
	s_and_not1_b32 s2, s9, exec_lo
	s_and_b32 s3, s11, exec_lo
	s_delay_alu instid0(SALU_CYCLE_1)
	s_or_b32 s9, s2, s3
	s_and_not1_b32 exec_lo, exec_lo, s5
	s_cbranch_execz .LBB37_27
.LBB37_10:                              ; =>This Inner Loop Header: Depth=1
	global_load_b32 v14, v[10:11], off
	v_mov_b32_e32 v13, 4
	s_or_b32 s11, s11, exec_lo
	s_or_b32 s10, s10, exec_lo
	s_wait_loadcnt 0x0
	v_subrev_nc_u32_e32 v15, s8, v14
	s_delay_alu instid0(VALU_DEP_1) | instskip(SKIP_2) | instid1(SALU_CYCLE_1)
	v_cmp_lt_i32_e32 vcc_lo, -1, v15
	v_cmp_gt_i32_e64 s2, s13, v15
	s_and_b32 s2, vcc_lo, s2
	s_and_saveexec_b32 s15, s2
	s_cbranch_execz .LBB37_9
; %bb.11:                               ;   in Loop: Header=BB37_10 Depth=1
	v_cmp_le_i64_e64 s19, v[0:1], v[4:5]
	v_mov_b32_e32 v13, 4
	s_mov_b32 s16, exec_lo
	s_mov_b32 s17, s19
	v_cmpx_gt_i64_e64 v[0:1], v[4:5]
	s_cbranch_execz .LBB37_13
; %bb.12:                               ;   in Loop: Header=BB37_10 Depth=1
	global_load_b64 v[16:17], v[8:9], off
	s_wait_loadcnt 0x0
	v_subrev_nc_u32_e32 v13, s8, v16
	v_cmp_ne_u32_e64 s3, v17, v16
	s_delay_alu instid0(VALU_DEP_2) | instskip(SKIP_3) | instid1(SALU_CYCLE_1)
	v_cmp_lt_i32_e32 vcc_lo, -1, v13
	v_cmp_gt_i32_e64 s2, s13, v13
	v_mov_b32_e32 v13, 5
	s_and_b32 s2, vcc_lo, s2
	s_xor_b32 s2, s2, -1
	s_delay_alu instid0(SALU_CYCLE_1) | instskip(SKIP_2) | instid1(SALU_CYCLE_1)
	s_or_b32 s2, s3, s2
	s_and_not1_b32 s3, s19, exec_lo
	s_and_b32 s2, s2, exec_lo
	s_or_b32 s17, s3, s2
.LBB37_13:                              ;   in Loop: Header=BB37_10 Depth=1
	s_or_b32 exec_lo, exec_lo, s16
	s_mov_b32 s2, -1
	s_mov_b32 s3, -1
	s_and_saveexec_b32 s16, s17
	s_cbranch_execz .LBB37_8
; %bb.14:                               ;   in Loop: Header=BB37_10 Depth=1
	global_load_b32 v16, v[6:7], off
	v_mov_b32_e32 v13, 1
	s_mov_b32 s17, exec_lo
	s_wait_loadcnt 0x0
	v_cmpx_neq_f32_e32 0x7f800000, v16
	s_cbranch_execz .LBB37_7
; %bb.15:                               ;   in Loop: Header=BB37_10 Depth=1
	v_mov_b32_e32 v13, 2
	s_mov_b32 s18, exec_lo
	v_cmpx_o_f32_e32 v16, v16
	s_cbranch_execz .LBB37_6
; %bb.16:                               ;   in Loop: Header=BB37_10 Depth=1
	s_and_b32 vcc_lo, exec_lo, s6
	s_cbranch_vccz .LBB37_19
; %bb.17:                               ;   in Loop: Header=BB37_10 Depth=1
	s_and_b32 vcc_lo, exec_lo, s4
	s_cbranch_vccz .LBB37_20
; %bb.18:                               ;   in Loop: Header=BB37_10 Depth=1
	v_cmp_le_i32_e32 vcc_lo, v12, v15
	s_mov_b32 s3, 7
	s_and_b32 s21, vcc_lo, exec_lo
	s_cbranch_execz .LBB37_21
	s_branch .LBB37_22
.LBB37_19:                              ;   in Loop: Header=BB37_10 Depth=1
	s_mov_b32 s3, 2
	s_mov_b32 s21, -1
	s_branch .LBB37_22
.LBB37_20:                              ;   in Loop: Header=BB37_10 Depth=1
	s_mov_b32 s21, 0
	s_mov_b32 s3, 2
.LBB37_21:                              ;   in Loop: Header=BB37_10 Depth=1
	v_cmp_ge_i32_e32 vcc_lo, v12, v15
	s_and_not1_b32 s20, s21, exec_lo
	s_mov_b32 s3, 7
	s_and_b32 s21, vcc_lo, exec_lo
	s_delay_alu instid0(SALU_CYCLE_1)
	s_or_b32 s21, s20, s21
.LBB37_22:                              ;   in Loop: Header=BB37_10 Depth=1
	v_mov_b32_e32 v13, s3
	s_mov_b32 s22, -1
	s_and_saveexec_b32 s20, s21
	s_cbranch_execz .LBB37_5
; %bb.23:                               ;   in Loop: Header=BB37_10 Depth=1
	v_mov_b32_e32 v13, s3
	s_nor_b32 s2, s7, s19
	s_mov_b32 s19, -1
	s_and_saveexec_b32 s21, s2
	s_cbranch_execz .LBB37_25
; %bb.24:                               ;   in Loop: Header=BB37_10 Depth=1
	global_load_b32 v13, v[10:11], off offset:-4
	s_wait_loadcnt 0x0
	v_subrev_nc_u32_e32 v15, s8, v13
	v_cmp_gt_i32_e64 s3, v14, v13
	v_mov_b32_e32 v13, 6
	s_delay_alu instid0(VALU_DEP_3) | instskip(SKIP_2) | instid1(SALU_CYCLE_1)
	v_cmp_lt_i32_e32 vcc_lo, -1, v15
	v_cmp_gt_i32_e64 s2, s13, v15
	s_and_b32 s2, vcc_lo, s2
	s_xor_b32 s2, s2, -1
	s_delay_alu instid0(SALU_CYCLE_1) | instskip(NEXT) | instid1(SALU_CYCLE_1)
	s_or_b32 s2, s3, s2
	s_or_not1_b32 s22, s2, exec_lo
.LBB37_25:                              ;   in Loop: Header=BB37_10 Depth=1
	s_or_b32 exec_lo, exec_lo, s21
	s_mov_b32 s2, -1
	s_and_saveexec_b32 s3, s22
	s_cbranch_execz .LBB37_4
; %bb.26:                               ;   in Loop: Header=BB37_10 Depth=1
	v_add_nc_u64_e32 v[0:1], 0x80, v[0:1]
	v_add_nc_u64_e32 v[8:9], 0x200, v[8:9]
	;; [unrolled: 1-line block ×4, first 2 shown]
	s_xor_b32 s2, exec_lo, -1
	s_delay_alu instid0(VALU_DEP_4)
	v_cmp_ge_i64_e32 vcc_lo, v[0:1], v[2:3]
	s_or_not1_b32 s19, vcc_lo, exec_lo
	s_branch .LBB37_4
.LBB37_27:
	s_or_b32 exec_lo, exec_lo, s5
	s_delay_alu instid0(SALU_CYCLE_1)
	s_and_b32 s2, s9, exec_lo
.LBB37_28:
	s_or_b32 exec_lo, exec_lo, s14
	s_delay_alu instid0(SALU_CYCLE_1)
	s_or_not1_b32 s2, s2, exec_lo
.LBB37_29:
	s_or_b32 exec_lo, exec_lo, s12
	s_delay_alu instid0(SALU_CYCLE_1)
	s_and_b32 exec_lo, exec_lo, s2
	s_cbranch_execz .LBB37_31
; %bb.30:
	s_load_b64 s[0:1], s[0:1], 0x40
	v_mov_b32_e32 v0, 0
	s_wait_kmcnt 0x0
	global_store_b32 v0, v13, s[0:1]
.LBB37_31:
	s_endpgm
	.section	.rodata,"a",@progbits
	.p2align	6, 0x0
	.amdhsa_kernel _ZN9rocsparseL23check_matrix_csr_deviceILj256ELj128EfliEEvT3_S1_T2_PKT1_PKS2_PKS1_S9_21rocsparse_index_base_22rocsparse_matrix_type_20rocsparse_fill_mode_23rocsparse_storage_mode_P22rocsparse_data_status_
		.amdhsa_group_segment_fixed_size 0
		.amdhsa_private_segment_fixed_size 0
		.amdhsa_kernarg_size 72
		.amdhsa_user_sgpr_count 2
		.amdhsa_user_sgpr_dispatch_ptr 0
		.amdhsa_user_sgpr_queue_ptr 0
		.amdhsa_user_sgpr_kernarg_segment_ptr 1
		.amdhsa_user_sgpr_dispatch_id 0
		.amdhsa_user_sgpr_kernarg_preload_length 0
		.amdhsa_user_sgpr_kernarg_preload_offset 0
		.amdhsa_user_sgpr_private_segment_size 0
		.amdhsa_wavefront_size32 1
		.amdhsa_uses_dynamic_stack 0
		.amdhsa_enable_private_segment 0
		.amdhsa_system_sgpr_workgroup_id_x 1
		.amdhsa_system_sgpr_workgroup_id_y 0
		.amdhsa_system_sgpr_workgroup_id_z 0
		.amdhsa_system_sgpr_workgroup_info 0
		.amdhsa_system_vgpr_workitem_id 0
		.amdhsa_next_free_vgpr 18
		.amdhsa_next_free_sgpr 23
		.amdhsa_named_barrier_count 0
		.amdhsa_reserve_vcc 1
		.amdhsa_float_round_mode_32 0
		.amdhsa_float_round_mode_16_64 0
		.amdhsa_float_denorm_mode_32 3
		.amdhsa_float_denorm_mode_16_64 3
		.amdhsa_fp16_overflow 0
		.amdhsa_memory_ordered 1
		.amdhsa_forward_progress 1
		.amdhsa_inst_pref_size 9
		.amdhsa_round_robin_scheduling 0
		.amdhsa_exception_fp_ieee_invalid_op 0
		.amdhsa_exception_fp_denorm_src 0
		.amdhsa_exception_fp_ieee_div_zero 0
		.amdhsa_exception_fp_ieee_overflow 0
		.amdhsa_exception_fp_ieee_underflow 0
		.amdhsa_exception_fp_ieee_inexact 0
		.amdhsa_exception_int_div_zero 0
	.end_amdhsa_kernel
	.section	.text._ZN9rocsparseL23check_matrix_csr_deviceILj256ELj128EfliEEvT3_S1_T2_PKT1_PKS2_PKS1_S9_21rocsparse_index_base_22rocsparse_matrix_type_20rocsparse_fill_mode_23rocsparse_storage_mode_P22rocsparse_data_status_,"axG",@progbits,_ZN9rocsparseL23check_matrix_csr_deviceILj256ELj128EfliEEvT3_S1_T2_PKT1_PKS2_PKS1_S9_21rocsparse_index_base_22rocsparse_matrix_type_20rocsparse_fill_mode_23rocsparse_storage_mode_P22rocsparse_data_status_,comdat
.Lfunc_end37:
	.size	_ZN9rocsparseL23check_matrix_csr_deviceILj256ELj128EfliEEvT3_S1_T2_PKT1_PKS2_PKS1_S9_21rocsparse_index_base_22rocsparse_matrix_type_20rocsparse_fill_mode_23rocsparse_storage_mode_P22rocsparse_data_status_, .Lfunc_end37-_ZN9rocsparseL23check_matrix_csr_deviceILj256ELj128EfliEEvT3_S1_T2_PKT1_PKS2_PKS1_S9_21rocsparse_index_base_22rocsparse_matrix_type_20rocsparse_fill_mode_23rocsparse_storage_mode_P22rocsparse_data_status_
                                        ; -- End function
	.set _ZN9rocsparseL23check_matrix_csr_deviceILj256ELj128EfliEEvT3_S1_T2_PKT1_PKS2_PKS1_S9_21rocsparse_index_base_22rocsparse_matrix_type_20rocsparse_fill_mode_23rocsparse_storage_mode_P22rocsparse_data_status_.num_vgpr, 18
	.set _ZN9rocsparseL23check_matrix_csr_deviceILj256ELj128EfliEEvT3_S1_T2_PKT1_PKS2_PKS1_S9_21rocsparse_index_base_22rocsparse_matrix_type_20rocsparse_fill_mode_23rocsparse_storage_mode_P22rocsparse_data_status_.num_agpr, 0
	.set _ZN9rocsparseL23check_matrix_csr_deviceILj256ELj128EfliEEvT3_S1_T2_PKT1_PKS2_PKS1_S9_21rocsparse_index_base_22rocsparse_matrix_type_20rocsparse_fill_mode_23rocsparse_storage_mode_P22rocsparse_data_status_.numbered_sgpr, 23
	.set _ZN9rocsparseL23check_matrix_csr_deviceILj256ELj128EfliEEvT3_S1_T2_PKT1_PKS2_PKS1_S9_21rocsparse_index_base_22rocsparse_matrix_type_20rocsparse_fill_mode_23rocsparse_storage_mode_P22rocsparse_data_status_.num_named_barrier, 0
	.set _ZN9rocsparseL23check_matrix_csr_deviceILj256ELj128EfliEEvT3_S1_T2_PKT1_PKS2_PKS1_S9_21rocsparse_index_base_22rocsparse_matrix_type_20rocsparse_fill_mode_23rocsparse_storage_mode_P22rocsparse_data_status_.private_seg_size, 0
	.set _ZN9rocsparseL23check_matrix_csr_deviceILj256ELj128EfliEEvT3_S1_T2_PKT1_PKS2_PKS1_S9_21rocsparse_index_base_22rocsparse_matrix_type_20rocsparse_fill_mode_23rocsparse_storage_mode_P22rocsparse_data_status_.uses_vcc, 1
	.set _ZN9rocsparseL23check_matrix_csr_deviceILj256ELj128EfliEEvT3_S1_T2_PKT1_PKS2_PKS1_S9_21rocsparse_index_base_22rocsparse_matrix_type_20rocsparse_fill_mode_23rocsparse_storage_mode_P22rocsparse_data_status_.uses_flat_scratch, 0
	.set _ZN9rocsparseL23check_matrix_csr_deviceILj256ELj128EfliEEvT3_S1_T2_PKT1_PKS2_PKS1_S9_21rocsparse_index_base_22rocsparse_matrix_type_20rocsparse_fill_mode_23rocsparse_storage_mode_P22rocsparse_data_status_.has_dyn_sized_stack, 0
	.set _ZN9rocsparseL23check_matrix_csr_deviceILj256ELj128EfliEEvT3_S1_T2_PKT1_PKS2_PKS1_S9_21rocsparse_index_base_22rocsparse_matrix_type_20rocsparse_fill_mode_23rocsparse_storage_mode_P22rocsparse_data_status_.has_recursion, 0
	.set _ZN9rocsparseL23check_matrix_csr_deviceILj256ELj128EfliEEvT3_S1_T2_PKT1_PKS2_PKS1_S9_21rocsparse_index_base_22rocsparse_matrix_type_20rocsparse_fill_mode_23rocsparse_storage_mode_P22rocsparse_data_status_.has_indirect_call, 0
	.section	.AMDGPU.csdata,"",@progbits
; Kernel info:
; codeLenInByte = 1036
; TotalNumSgprs: 25
; NumVgprs: 18
; ScratchSize: 0
; MemoryBound: 0
; FloatMode: 240
; IeeeMode: 1
; LDSByteSize: 0 bytes/workgroup (compile time only)
; SGPRBlocks: 0
; VGPRBlocks: 1
; NumSGPRsForWavesPerEU: 25
; NumVGPRsForWavesPerEU: 18
; NamedBarCnt: 0
; Occupancy: 16
; WaveLimiterHint : 0
; COMPUTE_PGM_RSRC2:SCRATCH_EN: 0
; COMPUTE_PGM_RSRC2:USER_SGPR: 2
; COMPUTE_PGM_RSRC2:TRAP_HANDLER: 0
; COMPUTE_PGM_RSRC2:TGID_X_EN: 1
; COMPUTE_PGM_RSRC2:TGID_Y_EN: 0
; COMPUTE_PGM_RSRC2:TGID_Z_EN: 0
; COMPUTE_PGM_RSRC2:TIDIG_COMP_CNT: 0
	.section	.text._ZN9rocsparseL23check_matrix_csr_deviceILj256ELj256EfliEEvT3_S1_T2_PKT1_PKS2_PKS1_S9_21rocsparse_index_base_22rocsparse_matrix_type_20rocsparse_fill_mode_23rocsparse_storage_mode_P22rocsparse_data_status_,"axG",@progbits,_ZN9rocsparseL23check_matrix_csr_deviceILj256ELj256EfliEEvT3_S1_T2_PKT1_PKS2_PKS1_S9_21rocsparse_index_base_22rocsparse_matrix_type_20rocsparse_fill_mode_23rocsparse_storage_mode_P22rocsparse_data_status_,comdat
	.globl	_ZN9rocsparseL23check_matrix_csr_deviceILj256ELj256EfliEEvT3_S1_T2_PKT1_PKS2_PKS1_S9_21rocsparse_index_base_22rocsparse_matrix_type_20rocsparse_fill_mode_23rocsparse_storage_mode_P22rocsparse_data_status_ ; -- Begin function _ZN9rocsparseL23check_matrix_csr_deviceILj256ELj256EfliEEvT3_S1_T2_PKT1_PKS2_PKS1_S9_21rocsparse_index_base_22rocsparse_matrix_type_20rocsparse_fill_mode_23rocsparse_storage_mode_P22rocsparse_data_status_
	.p2align	8
	.type	_ZN9rocsparseL23check_matrix_csr_deviceILj256ELj256EfliEEvT3_S1_T2_PKT1_PKS2_PKS1_S9_21rocsparse_index_base_22rocsparse_matrix_type_20rocsparse_fill_mode_23rocsparse_storage_mode_P22rocsparse_data_status_,@function
_ZN9rocsparseL23check_matrix_csr_deviceILj256ELj256EfliEEvT3_S1_T2_PKT1_PKS2_PKS1_S9_21rocsparse_index_base_22rocsparse_matrix_type_20rocsparse_fill_mode_23rocsparse_storage_mode_P22rocsparse_data_status_: ; @_ZN9rocsparseL23check_matrix_csr_deviceILj256ELj256EfliEEvT3_S1_T2_PKT1_PKS2_PKS1_S9_21rocsparse_index_base_22rocsparse_matrix_type_20rocsparse_fill_mode_23rocsparse_storage_mode_P22rocsparse_data_status_
; %bb.0:
	s_load_b64 s[12:13], s[0:1], 0x0
	s_bfe_u32 s2, ttmp6, 0x4000c
	s_and_b32 s3, ttmp6, 15
	s_add_co_i32 s2, s2, 1
	s_getreg_b32 s4, hwreg(HW_REG_IB_STS2, 6, 4)
	s_mul_i32 s2, ttmp9, s2
	s_delay_alu instid0(SALU_CYCLE_1) | instskip(SKIP_2) | instid1(SALU_CYCLE_1)
	s_add_co_i32 s3, s3, s2
	s_cmp_eq_u32 s4, 0
	s_cselect_b32 s2, ttmp9, s3
	s_and_b32 s14, s2, 0xffffff
	s_wait_kmcnt 0x0
	s_cmp_lt_i32 s14, s12
	s_cselect_b32 s2, -1, 0
	s_delay_alu instid0(SALU_CYCLE_1)
	s_and_saveexec_b32 s3, s2
	s_cbranch_execz .LBB38_31
; %bb.1:
	s_load_b64 s[2:3], s[0:1], 0x18
	v_lshlrev_b32_e64 v1, 3, s14
	v_mov_b32_e32 v12, 3
	s_wait_kmcnt 0x0
	global_load_b128 v[6:9], v1, s[2:3]
	s_wait_xcnt 0x0
	s_load_b64 s[2:3], s[2:3], 0x0
	s_wait_loadcnt 0x0
	s_wait_kmcnt 0x0
	v_sub_nc_u64_e64 v[2:3], v[8:9], s[2:3]
	v_sub_nc_u64_e64 v[4:5], v[6:7], s[2:3]
	v_cmp_lt_i64_e64 s2, v[8:9], v[6:7]
	s_delay_alu instid0(VALU_DEP_3) | instskip(NEXT) | instid1(VALU_DEP_3)
	v_cmp_gt_i64_e32 vcc_lo, 0, v[2:3]
	v_cmp_lt_i64_e64 s3, -1, v[4:5]
	s_or_b32 s2, vcc_lo, s2
	s_delay_alu instid0(SALU_CYCLE_1) | instskip(SKIP_2) | instid1(SALU_CYCLE_1)
	s_xor_b32 s4, s2, -1
	s_mov_b32 s2, -1
	s_and_b32 s3, s3, s4
	s_and_saveexec_b32 s12, s3
	s_cbranch_execz .LBB38_29
; %bb.2:
	v_dual_mov_b32 v1, 0 :: v_dual_mov_b32 v12, 3
	s_mov_b32 s2, 0
	s_mov_b32 s15, exec_lo
	s_delay_alu instid0(VALU_DEP_1) | instskip(NEXT) | instid1(VALU_DEP_1)
	v_add_nc_u64_e32 v[0:1], v[4:5], v[0:1]
	v_cmpx_lt_u64_e64 v[0:1], v[2:3]
	s_cbranch_execz .LBB38_28
; %bb.3:
	s_clause 0x1
	s_load_b256 s[4:11], s[0:1], 0x20
	s_load_b64 s[2:3], s[0:1], 0x10
	v_lshlrev_b64_e32 v[10:11], 2, v[0:1]
	s_wait_kmcnt 0x0
	s_delay_alu instid0(VALU_DEP_1)
	v_add_nc_u64_e32 v[8:9], s[6:7], v[10:11]
	s_cmp_lg_u32 s9, 0
	v_add_nc_u64_e32 v[6:7], s[2:3], v[10:11]
	v_add_nc_u64_e32 v[10:11], s[4:5], v[10:11]
	s_cselect_b32 s6, -1, 0
	s_cmp_lg_u32 s10, 0
	s_mov_b32 s5, 0
	v_add_nc_u64_e32 v[8:9], -4, v[8:9]
	s_cselect_b32 s4, -1, 0
	s_cmp_lg_u32 s11, 0
                                        ; implicit-def: $sgpr9
                                        ; implicit-def: $sgpr10
                                        ; implicit-def: $sgpr11
	s_cselect_b32 s7, -1, 0
	s_branch .LBB38_10
.LBB38_4:                               ;   in Loop: Header=BB38_10 Depth=1
	s_or_b32 exec_lo, exec_lo, s3
	s_delay_alu instid0(SALU_CYCLE_1)
	s_or_not1_b32 s23, s2, exec_lo
	s_or_not1_b32 s2, s20, exec_lo
.LBB38_5:                               ;   in Loop: Header=BB38_10 Depth=1
	s_or_b32 exec_lo, exec_lo, s21
	s_delay_alu instid0(SALU_CYCLE_1)
	s_or_not1_b32 s3, s23, exec_lo
	s_or_not1_b32 s2, s2, exec_lo
.LBB38_6:                               ;   in Loop: Header=BB38_10 Depth=1
	s_or_b32 exec_lo, exec_lo, s19
	s_delay_alu instid0(SALU_CYCLE_1)
	s_or_not1_b32 s3, s3, exec_lo
	s_or_not1_b32 s2, s2, exec_lo
.LBB38_7:                               ;   in Loop: Header=BB38_10 Depth=1
	s_or_b32 exec_lo, exec_lo, s18
	s_delay_alu instid0(SALU_CYCLE_1)
	s_or_not1_b32 s3, s3, exec_lo
	s_or_not1_b32 s2, s2, exec_lo
.LBB38_8:                               ;   in Loop: Header=BB38_10 Depth=1
	s_or_b32 exec_lo, exec_lo, s17
	s_delay_alu instid0(SALU_CYCLE_1)
	s_and_not1_b32 s11, s11, exec_lo
	s_and_b32 s3, s3, exec_lo
	s_and_not1_b32 s10, s10, exec_lo
	s_and_b32 s2, s2, exec_lo
	s_or_b32 s11, s11, s3
	s_or_b32 s10, s10, s2
.LBB38_9:                               ;   in Loop: Header=BB38_10 Depth=1
	s_or_b32 exec_lo, exec_lo, s16
	s_delay_alu instid0(SALU_CYCLE_1) | instskip(NEXT) | instid1(SALU_CYCLE_1)
	s_and_b32 s2, exec_lo, s10
	s_or_b32 s5, s2, s5
	s_and_not1_b32 s2, s9, exec_lo
	s_and_b32 s3, s11, exec_lo
	s_delay_alu instid0(SALU_CYCLE_1)
	s_or_b32 s9, s2, s3
	s_and_not1_b32 exec_lo, exec_lo, s5
	s_cbranch_execz .LBB38_27
.LBB38_10:                              ; =>This Inner Loop Header: Depth=1
	global_load_b32 v13, v[10:11], off
	v_mov_b32_e32 v12, 4
	s_or_b32 s11, s11, exec_lo
	s_or_b32 s10, s10, exec_lo
	s_wait_loadcnt 0x0
	v_subrev_nc_u32_e32 v14, s8, v13
	s_delay_alu instid0(VALU_DEP_1) | instskip(SKIP_2) | instid1(SALU_CYCLE_1)
	v_cmp_lt_i32_e32 vcc_lo, -1, v14
	v_cmp_gt_i32_e64 s2, s13, v14
	s_and_b32 s2, vcc_lo, s2
	s_and_saveexec_b32 s16, s2
	s_cbranch_execz .LBB38_9
; %bb.11:                               ;   in Loop: Header=BB38_10 Depth=1
	v_cmp_le_i64_e64 s20, v[0:1], v[4:5]
	v_mov_b32_e32 v12, 4
	s_mov_b32 s17, exec_lo
	s_mov_b32 s18, s20
	v_cmpx_gt_i64_e64 v[0:1], v[4:5]
	s_cbranch_execz .LBB38_13
; %bb.12:                               ;   in Loop: Header=BB38_10 Depth=1
	global_load_b64 v[16:17], v[8:9], off
	s_wait_loadcnt 0x0
	v_subrev_nc_u32_e32 v12, s8, v16
	v_cmp_ne_u32_e64 s3, v17, v16
	s_delay_alu instid0(VALU_DEP_2) | instskip(SKIP_3) | instid1(SALU_CYCLE_1)
	v_cmp_lt_i32_e32 vcc_lo, -1, v12
	v_cmp_gt_i32_e64 s2, s13, v12
	v_mov_b32_e32 v12, 5
	s_and_b32 s2, vcc_lo, s2
	s_xor_b32 s2, s2, -1
	s_delay_alu instid0(SALU_CYCLE_1) | instskip(SKIP_2) | instid1(SALU_CYCLE_1)
	s_or_b32 s2, s3, s2
	s_and_not1_b32 s3, s20, exec_lo
	s_and_b32 s2, s2, exec_lo
	s_or_b32 s18, s3, s2
.LBB38_13:                              ;   in Loop: Header=BB38_10 Depth=1
	s_or_b32 exec_lo, exec_lo, s17
	s_mov_b32 s2, -1
	s_mov_b32 s3, -1
	s_and_saveexec_b32 s17, s18
	s_cbranch_execz .LBB38_8
; %bb.14:                               ;   in Loop: Header=BB38_10 Depth=1
	global_load_b32 v15, v[6:7], off
	v_mov_b32_e32 v12, 1
	s_mov_b32 s18, exec_lo
	s_wait_loadcnt 0x0
	v_cmpx_neq_f32_e32 0x7f800000, v15
	s_cbranch_execz .LBB38_7
; %bb.15:                               ;   in Loop: Header=BB38_10 Depth=1
	v_mov_b32_e32 v12, 2
	s_mov_b32 s19, exec_lo
	v_cmpx_o_f32_e32 v15, v15
	s_cbranch_execz .LBB38_6
; %bb.16:                               ;   in Loop: Header=BB38_10 Depth=1
	s_and_b32 vcc_lo, exec_lo, s6
	s_cbranch_vccz .LBB38_19
; %bb.17:                               ;   in Loop: Header=BB38_10 Depth=1
	s_and_b32 vcc_lo, exec_lo, s4
	s_cbranch_vccz .LBB38_20
; %bb.18:                               ;   in Loop: Header=BB38_10 Depth=1
	v_cmp_le_i32_e32 vcc_lo, s14, v14
	s_mov_b32 s3, 7
	s_and_b32 s22, vcc_lo, exec_lo
	s_cbranch_execz .LBB38_21
	s_branch .LBB38_22
.LBB38_19:                              ;   in Loop: Header=BB38_10 Depth=1
	s_mov_b32 s3, 2
	s_mov_b32 s22, -1
	s_branch .LBB38_22
.LBB38_20:                              ;   in Loop: Header=BB38_10 Depth=1
	s_mov_b32 s22, 0
	s_mov_b32 s3, 2
.LBB38_21:                              ;   in Loop: Header=BB38_10 Depth=1
	v_cmp_ge_i32_e32 vcc_lo, s14, v14
	s_and_not1_b32 s21, s22, exec_lo
	s_mov_b32 s3, 7
	s_and_b32 s22, vcc_lo, exec_lo
	s_delay_alu instid0(SALU_CYCLE_1)
	s_or_b32 s22, s21, s22
.LBB38_22:                              ;   in Loop: Header=BB38_10 Depth=1
	v_mov_b32_e32 v12, s3
	s_mov_b32 s23, -1
	s_and_saveexec_b32 s21, s22
	s_cbranch_execz .LBB38_5
; %bb.23:                               ;   in Loop: Header=BB38_10 Depth=1
	v_mov_b32_e32 v12, s3
	s_nor_b32 s2, s7, s20
	s_mov_b32 s20, -1
	s_and_saveexec_b32 s22, s2
	s_cbranch_execz .LBB38_25
; %bb.24:                               ;   in Loop: Header=BB38_10 Depth=1
	global_load_b32 v12, v[10:11], off offset:-4
	s_wait_loadcnt 0x0
	v_subrev_nc_u32_e32 v14, s8, v12
	v_cmp_gt_i32_e64 s3, v13, v12
	v_mov_b32_e32 v12, 6
	s_delay_alu instid0(VALU_DEP_3) | instskip(SKIP_2) | instid1(SALU_CYCLE_1)
	v_cmp_lt_i32_e32 vcc_lo, -1, v14
	v_cmp_gt_i32_e64 s2, s13, v14
	s_and_b32 s2, vcc_lo, s2
	s_xor_b32 s2, s2, -1
	s_delay_alu instid0(SALU_CYCLE_1) | instskip(NEXT) | instid1(SALU_CYCLE_1)
	s_or_b32 s2, s3, s2
	s_or_not1_b32 s23, s2, exec_lo
.LBB38_25:                              ;   in Loop: Header=BB38_10 Depth=1
	s_or_b32 exec_lo, exec_lo, s22
	s_mov_b32 s2, -1
	s_and_saveexec_b32 s3, s23
	s_cbranch_execz .LBB38_4
; %bb.26:                               ;   in Loop: Header=BB38_10 Depth=1
	v_add_nc_u64_e32 v[0:1], 0x100, v[0:1]
	v_add_nc_u64_e32 v[8:9], 0x400, v[8:9]
	;; [unrolled: 1-line block ×4, first 2 shown]
	s_xor_b32 s2, exec_lo, -1
	s_delay_alu instid0(VALU_DEP_4)
	v_cmp_ge_i64_e32 vcc_lo, v[0:1], v[2:3]
	s_or_not1_b32 s20, vcc_lo, exec_lo
	s_branch .LBB38_4
.LBB38_27:
	s_or_b32 exec_lo, exec_lo, s5
	s_delay_alu instid0(SALU_CYCLE_1)
	s_and_b32 s2, s9, exec_lo
.LBB38_28:
	s_or_b32 exec_lo, exec_lo, s15
	s_delay_alu instid0(SALU_CYCLE_1)
	s_or_not1_b32 s2, s2, exec_lo
.LBB38_29:
	s_or_b32 exec_lo, exec_lo, s12
	s_delay_alu instid0(SALU_CYCLE_1)
	s_and_b32 exec_lo, exec_lo, s2
	s_cbranch_execz .LBB38_31
; %bb.30:
	s_load_b64 s[0:1], s[0:1], 0x40
	v_mov_b32_e32 v0, 0
	s_wait_kmcnt 0x0
	global_store_b32 v0, v12, s[0:1]
.LBB38_31:
	s_endpgm
	.section	.rodata,"a",@progbits
	.p2align	6, 0x0
	.amdhsa_kernel _ZN9rocsparseL23check_matrix_csr_deviceILj256ELj256EfliEEvT3_S1_T2_PKT1_PKS2_PKS1_S9_21rocsparse_index_base_22rocsparse_matrix_type_20rocsparse_fill_mode_23rocsparse_storage_mode_P22rocsparse_data_status_
		.amdhsa_group_segment_fixed_size 0
		.amdhsa_private_segment_fixed_size 0
		.amdhsa_kernarg_size 72
		.amdhsa_user_sgpr_count 2
		.amdhsa_user_sgpr_dispatch_ptr 0
		.amdhsa_user_sgpr_queue_ptr 0
		.amdhsa_user_sgpr_kernarg_segment_ptr 1
		.amdhsa_user_sgpr_dispatch_id 0
		.amdhsa_user_sgpr_kernarg_preload_length 0
		.amdhsa_user_sgpr_kernarg_preload_offset 0
		.amdhsa_user_sgpr_private_segment_size 0
		.amdhsa_wavefront_size32 1
		.amdhsa_uses_dynamic_stack 0
		.amdhsa_enable_private_segment 0
		.amdhsa_system_sgpr_workgroup_id_x 1
		.amdhsa_system_sgpr_workgroup_id_y 0
		.amdhsa_system_sgpr_workgroup_id_z 0
		.amdhsa_system_sgpr_workgroup_info 0
		.amdhsa_system_vgpr_workitem_id 0
		.amdhsa_next_free_vgpr 18
		.amdhsa_next_free_sgpr 24
		.amdhsa_named_barrier_count 0
		.amdhsa_reserve_vcc 1
		.amdhsa_float_round_mode_32 0
		.amdhsa_float_round_mode_16_64 0
		.amdhsa_float_denorm_mode_32 3
		.amdhsa_float_denorm_mode_16_64 3
		.amdhsa_fp16_overflow 0
		.amdhsa_memory_ordered 1
		.amdhsa_forward_progress 1
		.amdhsa_inst_pref_size 8
		.amdhsa_round_robin_scheduling 0
		.amdhsa_exception_fp_ieee_invalid_op 0
		.amdhsa_exception_fp_denorm_src 0
		.amdhsa_exception_fp_ieee_div_zero 0
		.amdhsa_exception_fp_ieee_overflow 0
		.amdhsa_exception_fp_ieee_underflow 0
		.amdhsa_exception_fp_ieee_inexact 0
		.amdhsa_exception_int_div_zero 0
	.end_amdhsa_kernel
	.section	.text._ZN9rocsparseL23check_matrix_csr_deviceILj256ELj256EfliEEvT3_S1_T2_PKT1_PKS2_PKS1_S9_21rocsparse_index_base_22rocsparse_matrix_type_20rocsparse_fill_mode_23rocsparse_storage_mode_P22rocsparse_data_status_,"axG",@progbits,_ZN9rocsparseL23check_matrix_csr_deviceILj256ELj256EfliEEvT3_S1_T2_PKT1_PKS2_PKS1_S9_21rocsparse_index_base_22rocsparse_matrix_type_20rocsparse_fill_mode_23rocsparse_storage_mode_P22rocsparse_data_status_,comdat
.Lfunc_end38:
	.size	_ZN9rocsparseL23check_matrix_csr_deviceILj256ELj256EfliEEvT3_S1_T2_PKT1_PKS2_PKS1_S9_21rocsparse_index_base_22rocsparse_matrix_type_20rocsparse_fill_mode_23rocsparse_storage_mode_P22rocsparse_data_status_, .Lfunc_end38-_ZN9rocsparseL23check_matrix_csr_deviceILj256ELj256EfliEEvT3_S1_T2_PKT1_PKS2_PKS1_S9_21rocsparse_index_base_22rocsparse_matrix_type_20rocsparse_fill_mode_23rocsparse_storage_mode_P22rocsparse_data_status_
                                        ; -- End function
	.set _ZN9rocsparseL23check_matrix_csr_deviceILj256ELj256EfliEEvT3_S1_T2_PKT1_PKS2_PKS1_S9_21rocsparse_index_base_22rocsparse_matrix_type_20rocsparse_fill_mode_23rocsparse_storage_mode_P22rocsparse_data_status_.num_vgpr, 18
	.set _ZN9rocsparseL23check_matrix_csr_deviceILj256ELj256EfliEEvT3_S1_T2_PKT1_PKS2_PKS1_S9_21rocsparse_index_base_22rocsparse_matrix_type_20rocsparse_fill_mode_23rocsparse_storage_mode_P22rocsparse_data_status_.num_agpr, 0
	.set _ZN9rocsparseL23check_matrix_csr_deviceILj256ELj256EfliEEvT3_S1_T2_PKT1_PKS2_PKS1_S9_21rocsparse_index_base_22rocsparse_matrix_type_20rocsparse_fill_mode_23rocsparse_storage_mode_P22rocsparse_data_status_.numbered_sgpr, 24
	.set _ZN9rocsparseL23check_matrix_csr_deviceILj256ELj256EfliEEvT3_S1_T2_PKT1_PKS2_PKS1_S9_21rocsparse_index_base_22rocsparse_matrix_type_20rocsparse_fill_mode_23rocsparse_storage_mode_P22rocsparse_data_status_.num_named_barrier, 0
	.set _ZN9rocsparseL23check_matrix_csr_deviceILj256ELj256EfliEEvT3_S1_T2_PKT1_PKS2_PKS1_S9_21rocsparse_index_base_22rocsparse_matrix_type_20rocsparse_fill_mode_23rocsparse_storage_mode_P22rocsparse_data_status_.private_seg_size, 0
	.set _ZN9rocsparseL23check_matrix_csr_deviceILj256ELj256EfliEEvT3_S1_T2_PKT1_PKS2_PKS1_S9_21rocsparse_index_base_22rocsparse_matrix_type_20rocsparse_fill_mode_23rocsparse_storage_mode_P22rocsparse_data_status_.uses_vcc, 1
	.set _ZN9rocsparseL23check_matrix_csr_deviceILj256ELj256EfliEEvT3_S1_T2_PKT1_PKS2_PKS1_S9_21rocsparse_index_base_22rocsparse_matrix_type_20rocsparse_fill_mode_23rocsparse_storage_mode_P22rocsparse_data_status_.uses_flat_scratch, 0
	.set _ZN9rocsparseL23check_matrix_csr_deviceILj256ELj256EfliEEvT3_S1_T2_PKT1_PKS2_PKS1_S9_21rocsparse_index_base_22rocsparse_matrix_type_20rocsparse_fill_mode_23rocsparse_storage_mode_P22rocsparse_data_status_.has_dyn_sized_stack, 0
	.set _ZN9rocsparseL23check_matrix_csr_deviceILj256ELj256EfliEEvT3_S1_T2_PKT1_PKS2_PKS1_S9_21rocsparse_index_base_22rocsparse_matrix_type_20rocsparse_fill_mode_23rocsparse_storage_mode_P22rocsparse_data_status_.has_recursion, 0
	.set _ZN9rocsparseL23check_matrix_csr_deviceILj256ELj256EfliEEvT3_S1_T2_PKT1_PKS2_PKS1_S9_21rocsparse_index_base_22rocsparse_matrix_type_20rocsparse_fill_mode_23rocsparse_storage_mode_P22rocsparse_data_status_.has_indirect_call, 0
	.section	.AMDGPU.csdata,"",@progbits
; Kernel info:
; codeLenInByte = 1020
; TotalNumSgprs: 26
; NumVgprs: 18
; ScratchSize: 0
; MemoryBound: 0
; FloatMode: 240
; IeeeMode: 1
; LDSByteSize: 0 bytes/workgroup (compile time only)
; SGPRBlocks: 0
; VGPRBlocks: 1
; NumSGPRsForWavesPerEU: 26
; NumVGPRsForWavesPerEU: 18
; NamedBarCnt: 0
; Occupancy: 16
; WaveLimiterHint : 0
; COMPUTE_PGM_RSRC2:SCRATCH_EN: 0
; COMPUTE_PGM_RSRC2:USER_SGPR: 2
; COMPUTE_PGM_RSRC2:TRAP_HANDLER: 0
; COMPUTE_PGM_RSRC2:TGID_X_EN: 1
; COMPUTE_PGM_RSRC2:TGID_Y_EN: 0
; COMPUTE_PGM_RSRC2:TGID_Z_EN: 0
; COMPUTE_PGM_RSRC2:TIDIG_COMP_CNT: 0
	.section	.text._ZN9rocsparseL23check_matrix_csr_deviceILj256ELj4EdliEEvT3_S1_T2_PKT1_PKS2_PKS1_S9_21rocsparse_index_base_22rocsparse_matrix_type_20rocsparse_fill_mode_23rocsparse_storage_mode_P22rocsparse_data_status_,"axG",@progbits,_ZN9rocsparseL23check_matrix_csr_deviceILj256ELj4EdliEEvT3_S1_T2_PKT1_PKS2_PKS1_S9_21rocsparse_index_base_22rocsparse_matrix_type_20rocsparse_fill_mode_23rocsparse_storage_mode_P22rocsparse_data_status_,comdat
	.globl	_ZN9rocsparseL23check_matrix_csr_deviceILj256ELj4EdliEEvT3_S1_T2_PKT1_PKS2_PKS1_S9_21rocsparse_index_base_22rocsparse_matrix_type_20rocsparse_fill_mode_23rocsparse_storage_mode_P22rocsparse_data_status_ ; -- Begin function _ZN9rocsparseL23check_matrix_csr_deviceILj256ELj4EdliEEvT3_S1_T2_PKT1_PKS2_PKS1_S9_21rocsparse_index_base_22rocsparse_matrix_type_20rocsparse_fill_mode_23rocsparse_storage_mode_P22rocsparse_data_status_
	.p2align	8
	.type	_ZN9rocsparseL23check_matrix_csr_deviceILj256ELj4EdliEEvT3_S1_T2_PKT1_PKS2_PKS1_S9_21rocsparse_index_base_22rocsparse_matrix_type_20rocsparse_fill_mode_23rocsparse_storage_mode_P22rocsparse_data_status_,@function
_ZN9rocsparseL23check_matrix_csr_deviceILj256ELj4EdliEEvT3_S1_T2_PKT1_PKS2_PKS1_S9_21rocsparse_index_base_22rocsparse_matrix_type_20rocsparse_fill_mode_23rocsparse_storage_mode_P22rocsparse_data_status_: ; @_ZN9rocsparseL23check_matrix_csr_deviceILj256ELj4EdliEEvT3_S1_T2_PKT1_PKS2_PKS1_S9_21rocsparse_index_base_22rocsparse_matrix_type_20rocsparse_fill_mode_23rocsparse_storage_mode_P22rocsparse_data_status_
; %bb.0:
	s_bfe_u32 s2, ttmp6, 0x4000c
	s_load_b64 s[12:13], s[0:1], 0x0
	s_add_co_i32 s2, s2, 1
	s_and_b32 s3, ttmp6, 15
	s_mul_i32 s2, ttmp9, s2
	s_getreg_b32 s4, hwreg(HW_REG_IB_STS2, 6, 4)
	s_add_co_i32 s3, s3, s2
	s_cmp_eq_u32 s4, 0
	s_cselect_b32 s2, ttmp9, s3
	s_delay_alu instid0(SALU_CYCLE_1) | instskip(SKIP_1) | instid1(VALU_DEP_1)
	v_lshl_or_b32 v1, s2, 8, v0
	s_mov_b32 s2, exec_lo
	v_lshrrev_b32_e32 v2, 2, v1
	s_wait_kmcnt 0x0
	s_delay_alu instid0(VALU_DEP_1)
	v_cmpx_gt_i32_e64 s12, v2
	s_cbranch_execz .LBB39_31
; %bb.1:
	s_load_b64 s[2:3], s[0:1], 0x18
	v_dual_mov_b32 v3, 0 :: v_dual_mov_b32 v16, 3
	s_wait_kmcnt 0x0
	s_delay_alu instid0(VALU_DEP_1)
	v_lshl_add_u64 v[4:5], v[2:3], 3, s[2:3]
	s_load_b64 s[2:3], s[2:3], 0x0
	global_load_b128 v[8:11], v[4:5], off
	s_wait_loadcnt 0x0
	s_wait_kmcnt 0x0
	v_sub_nc_u64_e64 v[4:5], v[10:11], s[2:3]
	v_sub_nc_u64_e64 v[6:7], v[8:9], s[2:3]
	v_cmp_lt_i64_e64 s2, v[10:11], v[8:9]
	s_delay_alu instid0(VALU_DEP_3) | instskip(NEXT) | instid1(VALU_DEP_3)
	v_cmp_gt_i64_e32 vcc_lo, 0, v[4:5]
	v_cmp_lt_i64_e64 s3, -1, v[6:7]
	s_or_b32 s2, vcc_lo, s2
	s_delay_alu instid0(SALU_CYCLE_1) | instskip(SKIP_2) | instid1(SALU_CYCLE_1)
	s_xor_b32 s4, s2, -1
	s_mov_b32 s2, -1
	s_and_b32 s3, s3, s4
	s_and_saveexec_b32 s12, s3
	s_cbranch_execz .LBB39_29
; %bb.2:
	v_dual_mov_b32 v1, v3 :: v_dual_bitop2_b32 v0, 3, v0 bitop3:0x40
	v_mov_b32_e32 v16, 3
	s_mov_b32 s2, 0
	s_mov_b32 s14, exec_lo
	s_delay_alu instid0(VALU_DEP_2) | instskip(NEXT) | instid1(VALU_DEP_1)
	v_add_nc_u64_e32 v[0:1], v[6:7], v[0:1]
	v_cmpx_lt_u64_e64 v[0:1], v[4:5]
	s_cbranch_execz .LBB39_28
; %bb.3:
	s_clause 0x1
	s_load_b256 s[4:11], s[0:1], 0x20
	s_load_b64 s[2:3], s[0:1], 0x10
	v_lshlrev_b64_e32 v[10:11], 2, v[0:1]
	s_wait_kmcnt 0x0
	s_delay_alu instid0(VALU_DEP_1)
	v_add_nc_u64_e32 v[8:9], s[6:7], v[10:11]
	s_cmp_lg_u32 s9, 0
	v_add_nc_u64_e32 v[10:11], s[4:5], v[10:11]
	s_cselect_b32 s6, -1, 0
	s_cmp_lg_u32 s10, 0
	v_lshl_add_u64 v[12:13], v[0:1], 3, s[2:3]
	s_cselect_b32 s4, -1, 0
	v_add_nc_u64_e32 v[8:9], -4, v[8:9]
	s_cmp_lg_u32 s11, 0
	s_mov_b32 s5, 0
	s_cselect_b32 s7, -1, 0
                                        ; implicit-def: $sgpr9
                                        ; implicit-def: $sgpr10
                                        ; implicit-def: $sgpr11
	s_branch .LBB39_10
.LBB39_4:                               ;   in Loop: Header=BB39_10 Depth=1
	s_or_b32 exec_lo, exec_lo, s3
	s_delay_alu instid0(SALU_CYCLE_1)
	s_or_not1_b32 s22, s2, exec_lo
	s_or_not1_b32 s2, s19, exec_lo
.LBB39_5:                               ;   in Loop: Header=BB39_10 Depth=1
	s_or_b32 exec_lo, exec_lo, s20
	s_delay_alu instid0(SALU_CYCLE_1)
	s_or_not1_b32 s3, s22, exec_lo
	s_or_not1_b32 s2, s2, exec_lo
.LBB39_6:                               ;   in Loop: Header=BB39_10 Depth=1
	s_or_b32 exec_lo, exec_lo, s18
	s_delay_alu instid0(SALU_CYCLE_1)
	s_or_not1_b32 s3, s3, exec_lo
	s_or_not1_b32 s2, s2, exec_lo
.LBB39_7:                               ;   in Loop: Header=BB39_10 Depth=1
	s_or_b32 exec_lo, exec_lo, s17
	s_delay_alu instid0(SALU_CYCLE_1)
	s_or_not1_b32 s3, s3, exec_lo
	s_or_not1_b32 s2, s2, exec_lo
.LBB39_8:                               ;   in Loop: Header=BB39_10 Depth=1
	s_or_b32 exec_lo, exec_lo, s16
	s_delay_alu instid0(SALU_CYCLE_1)
	s_and_not1_b32 s11, s11, exec_lo
	s_and_b32 s3, s3, exec_lo
	s_and_not1_b32 s10, s10, exec_lo
	s_and_b32 s2, s2, exec_lo
	s_or_b32 s11, s11, s3
	s_or_b32 s10, s10, s2
.LBB39_9:                               ;   in Loop: Header=BB39_10 Depth=1
	s_or_b32 exec_lo, exec_lo, s15
	s_delay_alu instid0(SALU_CYCLE_1) | instskip(NEXT) | instid1(SALU_CYCLE_1)
	s_and_b32 s2, exec_lo, s10
	s_or_b32 s5, s2, s5
	s_and_not1_b32 s2, s9, exec_lo
	s_and_b32 s3, s11, exec_lo
	s_delay_alu instid0(SALU_CYCLE_1)
	s_or_b32 s9, s2, s3
	s_and_not1_b32 exec_lo, exec_lo, s5
	s_cbranch_execz .LBB39_27
.LBB39_10:                              ; =>This Inner Loop Header: Depth=1
	global_load_b32 v3, v[10:11], off
	v_mov_b32_e32 v16, 4
	s_or_b32 s11, s11, exec_lo
	s_or_b32 s10, s10, exec_lo
	s_wait_loadcnt 0x0
	v_subrev_nc_u32_e32 v17, s8, v3
	s_delay_alu instid0(VALU_DEP_1) | instskip(SKIP_2) | instid1(SALU_CYCLE_1)
	v_cmp_lt_i32_e32 vcc_lo, -1, v17
	v_cmp_gt_i32_e64 s2, s13, v17
	s_and_b32 s2, vcc_lo, s2
	s_and_saveexec_b32 s15, s2
	s_cbranch_execz .LBB39_9
; %bb.11:                               ;   in Loop: Header=BB39_10 Depth=1
	v_cmp_le_i64_e64 s19, v[0:1], v[6:7]
	v_mov_b32_e32 v16, 4
	s_mov_b32 s16, exec_lo
	s_mov_b32 s17, s19
	v_cmpx_gt_i64_e64 v[0:1], v[6:7]
	s_cbranch_execz .LBB39_13
; %bb.12:                               ;   in Loop: Header=BB39_10 Depth=1
	global_load_b64 v[14:15], v[8:9], off
	s_wait_loadcnt 0x0
	v_subrev_nc_u32_e32 v16, s8, v14
	v_cmp_ne_u32_e64 s3, v15, v14
	s_delay_alu instid0(VALU_DEP_2) | instskip(SKIP_3) | instid1(SALU_CYCLE_1)
	v_cmp_lt_i32_e32 vcc_lo, -1, v16
	v_cmp_gt_i32_e64 s2, s13, v16
	v_mov_b32_e32 v16, 5
	s_and_b32 s2, vcc_lo, s2
	s_xor_b32 s2, s2, -1
	s_delay_alu instid0(SALU_CYCLE_1) | instskip(SKIP_2) | instid1(SALU_CYCLE_1)
	s_or_b32 s2, s3, s2
	s_and_not1_b32 s3, s19, exec_lo
	s_and_b32 s2, s2, exec_lo
	s_or_b32 s17, s3, s2
.LBB39_13:                              ;   in Loop: Header=BB39_10 Depth=1
	s_or_b32 exec_lo, exec_lo, s16
	s_mov_b32 s2, -1
	s_mov_b32 s3, -1
	s_and_saveexec_b32 s16, s17
	s_cbranch_execz .LBB39_8
; %bb.14:                               ;   in Loop: Header=BB39_10 Depth=1
	global_load_b64 v[14:15], v[12:13], off
	v_mov_b32_e32 v16, 1
	s_mov_b32 s17, exec_lo
	s_wait_loadcnt 0x0
	v_cmpx_neq_f64_e32 0x7ff00000, v[14:15]
	s_cbranch_execz .LBB39_7
; %bb.15:                               ;   in Loop: Header=BB39_10 Depth=1
	v_mov_b32_e32 v16, 2
	s_mov_b32 s18, exec_lo
	v_cmpx_o_f64_e32 v[14:15], v[14:15]
	s_cbranch_execz .LBB39_6
; %bb.16:                               ;   in Loop: Header=BB39_10 Depth=1
	s_and_b32 vcc_lo, exec_lo, s6
	s_cbranch_vccz .LBB39_19
; %bb.17:                               ;   in Loop: Header=BB39_10 Depth=1
	s_and_b32 vcc_lo, exec_lo, s4
	s_cbranch_vccz .LBB39_20
; %bb.18:                               ;   in Loop: Header=BB39_10 Depth=1
	v_cmp_le_i32_e32 vcc_lo, v2, v17
	s_mov_b32 s3, 7
	s_and_b32 s21, vcc_lo, exec_lo
	s_cbranch_execz .LBB39_21
	s_branch .LBB39_22
.LBB39_19:                              ;   in Loop: Header=BB39_10 Depth=1
	s_mov_b32 s3, 2
	s_mov_b32 s21, -1
	s_branch .LBB39_22
.LBB39_20:                              ;   in Loop: Header=BB39_10 Depth=1
	s_mov_b32 s21, 0
	s_mov_b32 s3, 2
.LBB39_21:                              ;   in Loop: Header=BB39_10 Depth=1
	v_cmp_ge_i32_e32 vcc_lo, v2, v17
	s_and_not1_b32 s20, s21, exec_lo
	s_mov_b32 s3, 7
	s_and_b32 s21, vcc_lo, exec_lo
	s_delay_alu instid0(SALU_CYCLE_1)
	s_or_b32 s21, s20, s21
.LBB39_22:                              ;   in Loop: Header=BB39_10 Depth=1
	v_mov_b32_e32 v16, s3
	s_mov_b32 s22, -1
	s_and_saveexec_b32 s20, s21
	s_cbranch_execz .LBB39_5
; %bb.23:                               ;   in Loop: Header=BB39_10 Depth=1
	v_mov_b32_e32 v16, s3
	s_nor_b32 s2, s7, s19
	s_mov_b32 s19, -1
	s_and_saveexec_b32 s21, s2
	s_cbranch_execz .LBB39_25
; %bb.24:                               ;   in Loop: Header=BB39_10 Depth=1
	global_load_b32 v14, v[10:11], off offset:-4
	v_mov_b32_e32 v16, 6
	s_wait_loadcnt 0x0
	v_subrev_nc_u32_e32 v15, s8, v14
	v_cmp_gt_i32_e64 s3, v3, v14
	s_delay_alu instid0(VALU_DEP_2) | instskip(SKIP_2) | instid1(SALU_CYCLE_1)
	v_cmp_lt_i32_e32 vcc_lo, -1, v15
	v_cmp_gt_i32_e64 s2, s13, v15
	s_and_b32 s2, vcc_lo, s2
	s_xor_b32 s2, s2, -1
	s_delay_alu instid0(SALU_CYCLE_1) | instskip(NEXT) | instid1(SALU_CYCLE_1)
	s_or_b32 s2, s3, s2
	s_or_not1_b32 s22, s2, exec_lo
.LBB39_25:                              ;   in Loop: Header=BB39_10 Depth=1
	s_or_b32 exec_lo, exec_lo, s21
	s_mov_b32 s2, -1
	s_and_saveexec_b32 s3, s22
	s_cbranch_execz .LBB39_4
; %bb.26:                               ;   in Loop: Header=BB39_10 Depth=1
	v_add_nc_u64_e32 v[0:1], 4, v[0:1]
	v_add_nc_u64_e32 v[8:9], 16, v[8:9]
	;; [unrolled: 1-line block ×4, first 2 shown]
	s_xor_b32 s2, exec_lo, -1
	s_delay_alu instid0(VALU_DEP_4)
	v_cmp_ge_i64_e32 vcc_lo, v[0:1], v[4:5]
	s_or_not1_b32 s19, vcc_lo, exec_lo
	s_branch .LBB39_4
.LBB39_27:
	s_or_b32 exec_lo, exec_lo, s5
	s_delay_alu instid0(SALU_CYCLE_1)
	s_and_b32 s2, s9, exec_lo
.LBB39_28:
	s_or_b32 exec_lo, exec_lo, s14
	s_delay_alu instid0(SALU_CYCLE_1)
	s_or_not1_b32 s2, s2, exec_lo
.LBB39_29:
	s_or_b32 exec_lo, exec_lo, s12
	s_delay_alu instid0(SALU_CYCLE_1)
	s_and_b32 exec_lo, exec_lo, s2
	s_cbranch_execz .LBB39_31
; %bb.30:
	s_load_b64 s[0:1], s[0:1], 0x40
	v_mov_b32_e32 v0, 0
	s_wait_kmcnt 0x0
	global_store_b32 v0, v16, s[0:1]
.LBB39_31:
	s_endpgm
	.section	.rodata,"a",@progbits
	.p2align	6, 0x0
	.amdhsa_kernel _ZN9rocsparseL23check_matrix_csr_deviceILj256ELj4EdliEEvT3_S1_T2_PKT1_PKS2_PKS1_S9_21rocsparse_index_base_22rocsparse_matrix_type_20rocsparse_fill_mode_23rocsparse_storage_mode_P22rocsparse_data_status_
		.amdhsa_group_segment_fixed_size 0
		.amdhsa_private_segment_fixed_size 0
		.amdhsa_kernarg_size 72
		.amdhsa_user_sgpr_count 2
		.amdhsa_user_sgpr_dispatch_ptr 0
		.amdhsa_user_sgpr_queue_ptr 0
		.amdhsa_user_sgpr_kernarg_segment_ptr 1
		.amdhsa_user_sgpr_dispatch_id 0
		.amdhsa_user_sgpr_kernarg_preload_length 0
		.amdhsa_user_sgpr_kernarg_preload_offset 0
		.amdhsa_user_sgpr_private_segment_size 0
		.amdhsa_wavefront_size32 1
		.amdhsa_uses_dynamic_stack 0
		.amdhsa_enable_private_segment 0
		.amdhsa_system_sgpr_workgroup_id_x 1
		.amdhsa_system_sgpr_workgroup_id_y 0
		.amdhsa_system_sgpr_workgroup_id_z 0
		.amdhsa_system_sgpr_workgroup_info 0
		.amdhsa_system_vgpr_workitem_id 0
		.amdhsa_next_free_vgpr 18
		.amdhsa_next_free_sgpr 23
		.amdhsa_named_barrier_count 0
		.amdhsa_reserve_vcc 1
		.amdhsa_float_round_mode_32 0
		.amdhsa_float_round_mode_16_64 0
		.amdhsa_float_denorm_mode_32 3
		.amdhsa_float_denorm_mode_16_64 3
		.amdhsa_fp16_overflow 0
		.amdhsa_memory_ordered 1
		.amdhsa_forward_progress 1
		.amdhsa_inst_pref_size 8
		.amdhsa_round_robin_scheduling 0
		.amdhsa_exception_fp_ieee_invalid_op 0
		.amdhsa_exception_fp_denorm_src 0
		.amdhsa_exception_fp_ieee_div_zero 0
		.amdhsa_exception_fp_ieee_overflow 0
		.amdhsa_exception_fp_ieee_underflow 0
		.amdhsa_exception_fp_ieee_inexact 0
		.amdhsa_exception_int_div_zero 0
	.end_amdhsa_kernel
	.section	.text._ZN9rocsparseL23check_matrix_csr_deviceILj256ELj4EdliEEvT3_S1_T2_PKT1_PKS2_PKS1_S9_21rocsparse_index_base_22rocsparse_matrix_type_20rocsparse_fill_mode_23rocsparse_storage_mode_P22rocsparse_data_status_,"axG",@progbits,_ZN9rocsparseL23check_matrix_csr_deviceILj256ELj4EdliEEvT3_S1_T2_PKT1_PKS2_PKS1_S9_21rocsparse_index_base_22rocsparse_matrix_type_20rocsparse_fill_mode_23rocsparse_storage_mode_P22rocsparse_data_status_,comdat
.Lfunc_end39:
	.size	_ZN9rocsparseL23check_matrix_csr_deviceILj256ELj4EdliEEvT3_S1_T2_PKT1_PKS2_PKS1_S9_21rocsparse_index_base_22rocsparse_matrix_type_20rocsparse_fill_mode_23rocsparse_storage_mode_P22rocsparse_data_status_, .Lfunc_end39-_ZN9rocsparseL23check_matrix_csr_deviceILj256ELj4EdliEEvT3_S1_T2_PKT1_PKS2_PKS1_S9_21rocsparse_index_base_22rocsparse_matrix_type_20rocsparse_fill_mode_23rocsparse_storage_mode_P22rocsparse_data_status_
                                        ; -- End function
	.set _ZN9rocsparseL23check_matrix_csr_deviceILj256ELj4EdliEEvT3_S1_T2_PKT1_PKS2_PKS1_S9_21rocsparse_index_base_22rocsparse_matrix_type_20rocsparse_fill_mode_23rocsparse_storage_mode_P22rocsparse_data_status_.num_vgpr, 18
	.set _ZN9rocsparseL23check_matrix_csr_deviceILj256ELj4EdliEEvT3_S1_T2_PKT1_PKS2_PKS1_S9_21rocsparse_index_base_22rocsparse_matrix_type_20rocsparse_fill_mode_23rocsparse_storage_mode_P22rocsparse_data_status_.num_agpr, 0
	.set _ZN9rocsparseL23check_matrix_csr_deviceILj256ELj4EdliEEvT3_S1_T2_PKT1_PKS2_PKS1_S9_21rocsparse_index_base_22rocsparse_matrix_type_20rocsparse_fill_mode_23rocsparse_storage_mode_P22rocsparse_data_status_.numbered_sgpr, 23
	.set _ZN9rocsparseL23check_matrix_csr_deviceILj256ELj4EdliEEvT3_S1_T2_PKT1_PKS2_PKS1_S9_21rocsparse_index_base_22rocsparse_matrix_type_20rocsparse_fill_mode_23rocsparse_storage_mode_P22rocsparse_data_status_.num_named_barrier, 0
	.set _ZN9rocsparseL23check_matrix_csr_deviceILj256ELj4EdliEEvT3_S1_T2_PKT1_PKS2_PKS1_S9_21rocsparse_index_base_22rocsparse_matrix_type_20rocsparse_fill_mode_23rocsparse_storage_mode_P22rocsparse_data_status_.private_seg_size, 0
	.set _ZN9rocsparseL23check_matrix_csr_deviceILj256ELj4EdliEEvT3_S1_T2_PKT1_PKS2_PKS1_S9_21rocsparse_index_base_22rocsparse_matrix_type_20rocsparse_fill_mode_23rocsparse_storage_mode_P22rocsparse_data_status_.uses_vcc, 1
	.set _ZN9rocsparseL23check_matrix_csr_deviceILj256ELj4EdliEEvT3_S1_T2_PKT1_PKS2_PKS1_S9_21rocsparse_index_base_22rocsparse_matrix_type_20rocsparse_fill_mode_23rocsparse_storage_mode_P22rocsparse_data_status_.uses_flat_scratch, 0
	.set _ZN9rocsparseL23check_matrix_csr_deviceILj256ELj4EdliEEvT3_S1_T2_PKT1_PKS2_PKS1_S9_21rocsparse_index_base_22rocsparse_matrix_type_20rocsparse_fill_mode_23rocsparse_storage_mode_P22rocsparse_data_status_.has_dyn_sized_stack, 0
	.set _ZN9rocsparseL23check_matrix_csr_deviceILj256ELj4EdliEEvT3_S1_T2_PKT1_PKS2_PKS1_S9_21rocsparse_index_base_22rocsparse_matrix_type_20rocsparse_fill_mode_23rocsparse_storage_mode_P22rocsparse_data_status_.has_recursion, 0
	.set _ZN9rocsparseL23check_matrix_csr_deviceILj256ELj4EdliEEvT3_S1_T2_PKT1_PKS2_PKS1_S9_21rocsparse_index_base_22rocsparse_matrix_type_20rocsparse_fill_mode_23rocsparse_storage_mode_P22rocsparse_data_status_.has_indirect_call, 0
	.section	.AMDGPU.csdata,"",@progbits
; Kernel info:
; codeLenInByte = 1024
; TotalNumSgprs: 25
; NumVgprs: 18
; ScratchSize: 0
; MemoryBound: 0
; FloatMode: 240
; IeeeMode: 1
; LDSByteSize: 0 bytes/workgroup (compile time only)
; SGPRBlocks: 0
; VGPRBlocks: 1
; NumSGPRsForWavesPerEU: 25
; NumVGPRsForWavesPerEU: 18
; NamedBarCnt: 0
; Occupancy: 16
; WaveLimiterHint : 0
; COMPUTE_PGM_RSRC2:SCRATCH_EN: 0
; COMPUTE_PGM_RSRC2:USER_SGPR: 2
; COMPUTE_PGM_RSRC2:TRAP_HANDLER: 0
; COMPUTE_PGM_RSRC2:TGID_X_EN: 1
; COMPUTE_PGM_RSRC2:TGID_Y_EN: 0
; COMPUTE_PGM_RSRC2:TGID_Z_EN: 0
; COMPUTE_PGM_RSRC2:TIDIG_COMP_CNT: 0
	.section	.text._ZN9rocsparseL23check_matrix_csr_deviceILj256ELj8EdliEEvT3_S1_T2_PKT1_PKS2_PKS1_S9_21rocsparse_index_base_22rocsparse_matrix_type_20rocsparse_fill_mode_23rocsparse_storage_mode_P22rocsparse_data_status_,"axG",@progbits,_ZN9rocsparseL23check_matrix_csr_deviceILj256ELj8EdliEEvT3_S1_T2_PKT1_PKS2_PKS1_S9_21rocsparse_index_base_22rocsparse_matrix_type_20rocsparse_fill_mode_23rocsparse_storage_mode_P22rocsparse_data_status_,comdat
	.globl	_ZN9rocsparseL23check_matrix_csr_deviceILj256ELj8EdliEEvT3_S1_T2_PKT1_PKS2_PKS1_S9_21rocsparse_index_base_22rocsparse_matrix_type_20rocsparse_fill_mode_23rocsparse_storage_mode_P22rocsparse_data_status_ ; -- Begin function _ZN9rocsparseL23check_matrix_csr_deviceILj256ELj8EdliEEvT3_S1_T2_PKT1_PKS2_PKS1_S9_21rocsparse_index_base_22rocsparse_matrix_type_20rocsparse_fill_mode_23rocsparse_storage_mode_P22rocsparse_data_status_
	.p2align	8
	.type	_ZN9rocsparseL23check_matrix_csr_deviceILj256ELj8EdliEEvT3_S1_T2_PKT1_PKS2_PKS1_S9_21rocsparse_index_base_22rocsparse_matrix_type_20rocsparse_fill_mode_23rocsparse_storage_mode_P22rocsparse_data_status_,@function
_ZN9rocsparseL23check_matrix_csr_deviceILj256ELj8EdliEEvT3_S1_T2_PKT1_PKS2_PKS1_S9_21rocsparse_index_base_22rocsparse_matrix_type_20rocsparse_fill_mode_23rocsparse_storage_mode_P22rocsparse_data_status_: ; @_ZN9rocsparseL23check_matrix_csr_deviceILj256ELj8EdliEEvT3_S1_T2_PKT1_PKS2_PKS1_S9_21rocsparse_index_base_22rocsparse_matrix_type_20rocsparse_fill_mode_23rocsparse_storage_mode_P22rocsparse_data_status_
; %bb.0:
	s_bfe_u32 s2, ttmp6, 0x4000c
	s_load_b64 s[12:13], s[0:1], 0x0
	s_add_co_i32 s2, s2, 1
	s_and_b32 s3, ttmp6, 15
	s_mul_i32 s2, ttmp9, s2
	s_getreg_b32 s4, hwreg(HW_REG_IB_STS2, 6, 4)
	s_add_co_i32 s3, s3, s2
	s_cmp_eq_u32 s4, 0
	s_cselect_b32 s2, ttmp9, s3
	s_delay_alu instid0(SALU_CYCLE_1) | instskip(SKIP_1) | instid1(VALU_DEP_1)
	v_lshl_or_b32 v1, s2, 8, v0
	s_mov_b32 s2, exec_lo
	v_lshrrev_b32_e32 v14, 3, v1
	s_wait_kmcnt 0x0
	s_delay_alu instid0(VALU_DEP_1)
	v_cmpx_gt_i32_e64 s12, v14
	s_cbranch_execz .LBB40_31
; %bb.1:
	s_load_b64 s[2:3], s[0:1], 0x18
	v_dual_lshlrev_b32 v1, 3, v14 :: v_dual_mov_b32 v15, 3
	s_wait_kmcnt 0x0
	global_load_b128 v[6:9], v1, s[2:3]
	s_wait_xcnt 0x0
	s_load_b64 s[2:3], s[2:3], 0x0
	s_wait_loadcnt 0x0
	s_wait_kmcnt 0x0
	v_sub_nc_u64_e64 v[2:3], v[8:9], s[2:3]
	v_sub_nc_u64_e64 v[4:5], v[6:7], s[2:3]
	v_cmp_lt_i64_e64 s2, v[8:9], v[6:7]
	s_delay_alu instid0(VALU_DEP_3) | instskip(NEXT) | instid1(VALU_DEP_3)
	v_cmp_gt_i64_e32 vcc_lo, 0, v[2:3]
	v_cmp_lt_i64_e64 s3, -1, v[4:5]
	s_or_b32 s2, vcc_lo, s2
	s_delay_alu instid0(SALU_CYCLE_1) | instskip(SKIP_2) | instid1(SALU_CYCLE_1)
	s_xor_b32 s4, s2, -1
	s_mov_b32 s2, -1
	s_and_b32 s3, s3, s4
	s_and_saveexec_b32 s12, s3
	s_cbranch_execz .LBB40_29
; %bb.2:
	v_dual_mov_b32 v1, 0 :: v_dual_bitop2_b32 v0, 7, v0 bitop3:0x40
	v_mov_b32_e32 v15, 3
	s_mov_b32 s2, 0
	s_mov_b32 s14, exec_lo
	s_delay_alu instid0(VALU_DEP_2) | instskip(NEXT) | instid1(VALU_DEP_1)
	v_add_nc_u64_e32 v[0:1], v[4:5], v[0:1]
	v_cmpx_lt_u64_e64 v[0:1], v[2:3]
	s_cbranch_execz .LBB40_28
; %bb.3:
	s_clause 0x1
	s_load_b256 s[4:11], s[0:1], 0x20
	s_load_b64 s[2:3], s[0:1], 0x10
	v_lshlrev_b64_e32 v[8:9], 2, v[0:1]
	s_wait_kmcnt 0x0
	s_delay_alu instid0(VALU_DEP_1)
	v_add_nc_u64_e32 v[6:7], s[6:7], v[8:9]
	s_cmp_lg_u32 s9, 0
	v_add_nc_u64_e32 v[8:9], s[4:5], v[8:9]
	s_cselect_b32 s6, -1, 0
	s_cmp_lg_u32 s10, 0
	v_lshl_add_u64 v[10:11], v[0:1], 3, s[2:3]
	s_cselect_b32 s4, -1, 0
	v_add_nc_u64_e32 v[6:7], -4, v[6:7]
	s_cmp_lg_u32 s11, 0
	s_mov_b32 s5, 0
	s_cselect_b32 s7, -1, 0
                                        ; implicit-def: $sgpr9
                                        ; implicit-def: $sgpr10
                                        ; implicit-def: $sgpr11
	s_branch .LBB40_10
.LBB40_4:                               ;   in Loop: Header=BB40_10 Depth=1
	s_or_b32 exec_lo, exec_lo, s3
	s_delay_alu instid0(SALU_CYCLE_1)
	s_or_not1_b32 s22, s2, exec_lo
	s_or_not1_b32 s2, s19, exec_lo
.LBB40_5:                               ;   in Loop: Header=BB40_10 Depth=1
	s_or_b32 exec_lo, exec_lo, s20
	s_delay_alu instid0(SALU_CYCLE_1)
	s_or_not1_b32 s3, s22, exec_lo
	s_or_not1_b32 s2, s2, exec_lo
.LBB40_6:                               ;   in Loop: Header=BB40_10 Depth=1
	s_or_b32 exec_lo, exec_lo, s18
	s_delay_alu instid0(SALU_CYCLE_1)
	s_or_not1_b32 s3, s3, exec_lo
	s_or_not1_b32 s2, s2, exec_lo
.LBB40_7:                               ;   in Loop: Header=BB40_10 Depth=1
	s_or_b32 exec_lo, exec_lo, s17
	s_delay_alu instid0(SALU_CYCLE_1)
	s_or_not1_b32 s3, s3, exec_lo
	s_or_not1_b32 s2, s2, exec_lo
.LBB40_8:                               ;   in Loop: Header=BB40_10 Depth=1
	s_or_b32 exec_lo, exec_lo, s16
	s_delay_alu instid0(SALU_CYCLE_1)
	s_and_not1_b32 s11, s11, exec_lo
	s_and_b32 s3, s3, exec_lo
	s_and_not1_b32 s10, s10, exec_lo
	s_and_b32 s2, s2, exec_lo
	s_or_b32 s11, s11, s3
	s_or_b32 s10, s10, s2
.LBB40_9:                               ;   in Loop: Header=BB40_10 Depth=1
	s_or_b32 exec_lo, exec_lo, s15
	s_delay_alu instid0(SALU_CYCLE_1) | instskip(NEXT) | instid1(SALU_CYCLE_1)
	s_and_b32 s2, exec_lo, s10
	s_or_b32 s5, s2, s5
	s_and_not1_b32 s2, s9, exec_lo
	s_and_b32 s3, s11, exec_lo
	s_delay_alu instid0(SALU_CYCLE_1)
	s_or_b32 s9, s2, s3
	s_and_not1_b32 exec_lo, exec_lo, s5
	s_cbranch_execz .LBB40_27
.LBB40_10:                              ; =>This Inner Loop Header: Depth=1
	global_load_b32 v16, v[8:9], off
	v_mov_b32_e32 v15, 4
	s_or_b32 s11, s11, exec_lo
	s_or_b32 s10, s10, exec_lo
	s_wait_loadcnt 0x0
	v_subrev_nc_u32_e32 v17, s8, v16
	s_delay_alu instid0(VALU_DEP_1) | instskip(SKIP_2) | instid1(SALU_CYCLE_1)
	v_cmp_lt_i32_e32 vcc_lo, -1, v17
	v_cmp_gt_i32_e64 s2, s13, v17
	s_and_b32 s2, vcc_lo, s2
	s_and_saveexec_b32 s15, s2
	s_cbranch_execz .LBB40_9
; %bb.11:                               ;   in Loop: Header=BB40_10 Depth=1
	v_cmp_le_i64_e64 s19, v[0:1], v[4:5]
	v_mov_b32_e32 v15, 4
	s_mov_b32 s16, exec_lo
	s_mov_b32 s17, s19
	v_cmpx_gt_i64_e64 v[0:1], v[4:5]
	s_cbranch_execz .LBB40_13
; %bb.12:                               ;   in Loop: Header=BB40_10 Depth=1
	global_load_b64 v[12:13], v[6:7], off
	s_wait_loadcnt 0x0
	v_subrev_nc_u32_e32 v15, s8, v12
	v_cmp_ne_u32_e64 s3, v13, v12
	s_delay_alu instid0(VALU_DEP_2) | instskip(SKIP_3) | instid1(SALU_CYCLE_1)
	v_cmp_lt_i32_e32 vcc_lo, -1, v15
	v_cmp_gt_i32_e64 s2, s13, v15
	v_mov_b32_e32 v15, 5
	s_and_b32 s2, vcc_lo, s2
	s_xor_b32 s2, s2, -1
	s_delay_alu instid0(SALU_CYCLE_1) | instskip(SKIP_2) | instid1(SALU_CYCLE_1)
	s_or_b32 s2, s3, s2
	s_and_not1_b32 s3, s19, exec_lo
	s_and_b32 s2, s2, exec_lo
	s_or_b32 s17, s3, s2
.LBB40_13:                              ;   in Loop: Header=BB40_10 Depth=1
	s_or_b32 exec_lo, exec_lo, s16
	s_mov_b32 s2, -1
	s_mov_b32 s3, -1
	s_and_saveexec_b32 s16, s17
	s_cbranch_execz .LBB40_8
; %bb.14:                               ;   in Loop: Header=BB40_10 Depth=1
	global_load_b64 v[12:13], v[10:11], off
	v_mov_b32_e32 v15, 1
	s_mov_b32 s17, exec_lo
	s_wait_loadcnt 0x0
	v_cmpx_neq_f64_e32 0x7ff00000, v[12:13]
	s_cbranch_execz .LBB40_7
; %bb.15:                               ;   in Loop: Header=BB40_10 Depth=1
	v_mov_b32_e32 v15, 2
	s_mov_b32 s18, exec_lo
	v_cmpx_o_f64_e32 v[12:13], v[12:13]
	s_cbranch_execz .LBB40_6
; %bb.16:                               ;   in Loop: Header=BB40_10 Depth=1
	s_and_b32 vcc_lo, exec_lo, s6
	s_cbranch_vccz .LBB40_19
; %bb.17:                               ;   in Loop: Header=BB40_10 Depth=1
	s_and_b32 vcc_lo, exec_lo, s4
	s_cbranch_vccz .LBB40_20
; %bb.18:                               ;   in Loop: Header=BB40_10 Depth=1
	v_cmp_le_i32_e32 vcc_lo, v14, v17
	s_mov_b32 s3, 7
	s_and_b32 s21, vcc_lo, exec_lo
	s_cbranch_execz .LBB40_21
	s_branch .LBB40_22
.LBB40_19:                              ;   in Loop: Header=BB40_10 Depth=1
	s_mov_b32 s3, 2
	s_mov_b32 s21, -1
	s_branch .LBB40_22
.LBB40_20:                              ;   in Loop: Header=BB40_10 Depth=1
	s_mov_b32 s21, 0
	s_mov_b32 s3, 2
.LBB40_21:                              ;   in Loop: Header=BB40_10 Depth=1
	v_cmp_ge_i32_e32 vcc_lo, v14, v17
	s_and_not1_b32 s20, s21, exec_lo
	s_mov_b32 s3, 7
	s_and_b32 s21, vcc_lo, exec_lo
	s_delay_alu instid0(SALU_CYCLE_1)
	s_or_b32 s21, s20, s21
.LBB40_22:                              ;   in Loop: Header=BB40_10 Depth=1
	v_mov_b32_e32 v15, s3
	s_mov_b32 s22, -1
	s_and_saveexec_b32 s20, s21
	s_cbranch_execz .LBB40_5
; %bb.23:                               ;   in Loop: Header=BB40_10 Depth=1
	v_mov_b32_e32 v15, s3
	s_nor_b32 s2, s7, s19
	s_mov_b32 s19, -1
	s_and_saveexec_b32 s21, s2
	s_cbranch_execz .LBB40_25
; %bb.24:                               ;   in Loop: Header=BB40_10 Depth=1
	global_load_b32 v12, v[8:9], off offset:-4
	v_mov_b32_e32 v15, 6
	s_wait_loadcnt 0x0
	v_subrev_nc_u32_e32 v13, s8, v12
	v_cmp_gt_i32_e64 s3, v16, v12
	s_delay_alu instid0(VALU_DEP_2) | instskip(SKIP_2) | instid1(SALU_CYCLE_1)
	v_cmp_lt_i32_e32 vcc_lo, -1, v13
	v_cmp_gt_i32_e64 s2, s13, v13
	s_and_b32 s2, vcc_lo, s2
	s_xor_b32 s2, s2, -1
	s_delay_alu instid0(SALU_CYCLE_1) | instskip(NEXT) | instid1(SALU_CYCLE_1)
	s_or_b32 s2, s3, s2
	s_or_not1_b32 s22, s2, exec_lo
.LBB40_25:                              ;   in Loop: Header=BB40_10 Depth=1
	s_or_b32 exec_lo, exec_lo, s21
	s_mov_b32 s2, -1
	s_and_saveexec_b32 s3, s22
	s_cbranch_execz .LBB40_4
; %bb.26:                               ;   in Loop: Header=BB40_10 Depth=1
	v_add_nc_u64_e32 v[0:1], 8, v[0:1]
	v_add_nc_u64_e32 v[6:7], 32, v[6:7]
	;; [unrolled: 1-line block ×4, first 2 shown]
	s_xor_b32 s2, exec_lo, -1
	s_delay_alu instid0(VALU_DEP_4)
	v_cmp_ge_i64_e32 vcc_lo, v[0:1], v[2:3]
	s_or_not1_b32 s19, vcc_lo, exec_lo
	s_branch .LBB40_4
.LBB40_27:
	s_or_b32 exec_lo, exec_lo, s5
	s_delay_alu instid0(SALU_CYCLE_1)
	s_and_b32 s2, s9, exec_lo
.LBB40_28:
	s_or_b32 exec_lo, exec_lo, s14
	s_delay_alu instid0(SALU_CYCLE_1)
	s_or_not1_b32 s2, s2, exec_lo
.LBB40_29:
	s_or_b32 exec_lo, exec_lo, s12
	s_delay_alu instid0(SALU_CYCLE_1)
	s_and_b32 exec_lo, exec_lo, s2
	s_cbranch_execz .LBB40_31
; %bb.30:
	s_load_b64 s[0:1], s[0:1], 0x40
	v_mov_b32_e32 v0, 0
	s_wait_kmcnt 0x0
	global_store_b32 v0, v15, s[0:1]
.LBB40_31:
	s_endpgm
	.section	.rodata,"a",@progbits
	.p2align	6, 0x0
	.amdhsa_kernel _ZN9rocsparseL23check_matrix_csr_deviceILj256ELj8EdliEEvT3_S1_T2_PKT1_PKS2_PKS1_S9_21rocsparse_index_base_22rocsparse_matrix_type_20rocsparse_fill_mode_23rocsparse_storage_mode_P22rocsparse_data_status_
		.amdhsa_group_segment_fixed_size 0
		.amdhsa_private_segment_fixed_size 0
		.amdhsa_kernarg_size 72
		.amdhsa_user_sgpr_count 2
		.amdhsa_user_sgpr_dispatch_ptr 0
		.amdhsa_user_sgpr_queue_ptr 0
		.amdhsa_user_sgpr_kernarg_segment_ptr 1
		.amdhsa_user_sgpr_dispatch_id 0
		.amdhsa_user_sgpr_kernarg_preload_length 0
		.amdhsa_user_sgpr_kernarg_preload_offset 0
		.amdhsa_user_sgpr_private_segment_size 0
		.amdhsa_wavefront_size32 1
		.amdhsa_uses_dynamic_stack 0
		.amdhsa_enable_private_segment 0
		.amdhsa_system_sgpr_workgroup_id_x 1
		.amdhsa_system_sgpr_workgroup_id_y 0
		.amdhsa_system_sgpr_workgroup_id_z 0
		.amdhsa_system_sgpr_workgroup_info 0
		.amdhsa_system_vgpr_workitem_id 0
		.amdhsa_next_free_vgpr 18
		.amdhsa_next_free_sgpr 23
		.amdhsa_named_barrier_count 0
		.amdhsa_reserve_vcc 1
		.amdhsa_float_round_mode_32 0
		.amdhsa_float_round_mode_16_64 0
		.amdhsa_float_denorm_mode_32 3
		.amdhsa_float_denorm_mode_16_64 3
		.amdhsa_fp16_overflow 0
		.amdhsa_memory_ordered 1
		.amdhsa_forward_progress 1
		.amdhsa_inst_pref_size 8
		.amdhsa_round_robin_scheduling 0
		.amdhsa_exception_fp_ieee_invalid_op 0
		.amdhsa_exception_fp_denorm_src 0
		.amdhsa_exception_fp_ieee_div_zero 0
		.amdhsa_exception_fp_ieee_overflow 0
		.amdhsa_exception_fp_ieee_underflow 0
		.amdhsa_exception_fp_ieee_inexact 0
		.amdhsa_exception_int_div_zero 0
	.end_amdhsa_kernel
	.section	.text._ZN9rocsparseL23check_matrix_csr_deviceILj256ELj8EdliEEvT3_S1_T2_PKT1_PKS2_PKS1_S9_21rocsparse_index_base_22rocsparse_matrix_type_20rocsparse_fill_mode_23rocsparse_storage_mode_P22rocsparse_data_status_,"axG",@progbits,_ZN9rocsparseL23check_matrix_csr_deviceILj256ELj8EdliEEvT3_S1_T2_PKT1_PKS2_PKS1_S9_21rocsparse_index_base_22rocsparse_matrix_type_20rocsparse_fill_mode_23rocsparse_storage_mode_P22rocsparse_data_status_,comdat
.Lfunc_end40:
	.size	_ZN9rocsparseL23check_matrix_csr_deviceILj256ELj8EdliEEvT3_S1_T2_PKT1_PKS2_PKS1_S9_21rocsparse_index_base_22rocsparse_matrix_type_20rocsparse_fill_mode_23rocsparse_storage_mode_P22rocsparse_data_status_, .Lfunc_end40-_ZN9rocsparseL23check_matrix_csr_deviceILj256ELj8EdliEEvT3_S1_T2_PKT1_PKS2_PKS1_S9_21rocsparse_index_base_22rocsparse_matrix_type_20rocsparse_fill_mode_23rocsparse_storage_mode_P22rocsparse_data_status_
                                        ; -- End function
	.set _ZN9rocsparseL23check_matrix_csr_deviceILj256ELj8EdliEEvT3_S1_T2_PKT1_PKS2_PKS1_S9_21rocsparse_index_base_22rocsparse_matrix_type_20rocsparse_fill_mode_23rocsparse_storage_mode_P22rocsparse_data_status_.num_vgpr, 18
	.set _ZN9rocsparseL23check_matrix_csr_deviceILj256ELj8EdliEEvT3_S1_T2_PKT1_PKS2_PKS1_S9_21rocsparse_index_base_22rocsparse_matrix_type_20rocsparse_fill_mode_23rocsparse_storage_mode_P22rocsparse_data_status_.num_agpr, 0
	.set _ZN9rocsparseL23check_matrix_csr_deviceILj256ELj8EdliEEvT3_S1_T2_PKT1_PKS2_PKS1_S9_21rocsparse_index_base_22rocsparse_matrix_type_20rocsparse_fill_mode_23rocsparse_storage_mode_P22rocsparse_data_status_.numbered_sgpr, 23
	.set _ZN9rocsparseL23check_matrix_csr_deviceILj256ELj8EdliEEvT3_S1_T2_PKT1_PKS2_PKS1_S9_21rocsparse_index_base_22rocsparse_matrix_type_20rocsparse_fill_mode_23rocsparse_storage_mode_P22rocsparse_data_status_.num_named_barrier, 0
	.set _ZN9rocsparseL23check_matrix_csr_deviceILj256ELj8EdliEEvT3_S1_T2_PKT1_PKS2_PKS1_S9_21rocsparse_index_base_22rocsparse_matrix_type_20rocsparse_fill_mode_23rocsparse_storage_mode_P22rocsparse_data_status_.private_seg_size, 0
	.set _ZN9rocsparseL23check_matrix_csr_deviceILj256ELj8EdliEEvT3_S1_T2_PKT1_PKS2_PKS1_S9_21rocsparse_index_base_22rocsparse_matrix_type_20rocsparse_fill_mode_23rocsparse_storage_mode_P22rocsparse_data_status_.uses_vcc, 1
	.set _ZN9rocsparseL23check_matrix_csr_deviceILj256ELj8EdliEEvT3_S1_T2_PKT1_PKS2_PKS1_S9_21rocsparse_index_base_22rocsparse_matrix_type_20rocsparse_fill_mode_23rocsparse_storage_mode_P22rocsparse_data_status_.uses_flat_scratch, 0
	.set _ZN9rocsparseL23check_matrix_csr_deviceILj256ELj8EdliEEvT3_S1_T2_PKT1_PKS2_PKS1_S9_21rocsparse_index_base_22rocsparse_matrix_type_20rocsparse_fill_mode_23rocsparse_storage_mode_P22rocsparse_data_status_.has_dyn_sized_stack, 0
	.set _ZN9rocsparseL23check_matrix_csr_deviceILj256ELj8EdliEEvT3_S1_T2_PKT1_PKS2_PKS1_S9_21rocsparse_index_base_22rocsparse_matrix_type_20rocsparse_fill_mode_23rocsparse_storage_mode_P22rocsparse_data_status_.has_recursion, 0
	.set _ZN9rocsparseL23check_matrix_csr_deviceILj256ELj8EdliEEvT3_S1_T2_PKT1_PKS2_PKS1_S9_21rocsparse_index_base_22rocsparse_matrix_type_20rocsparse_fill_mode_23rocsparse_storage_mode_P22rocsparse_data_status_.has_indirect_call, 0
	.section	.AMDGPU.csdata,"",@progbits
; Kernel info:
; codeLenInByte = 1020
; TotalNumSgprs: 25
; NumVgprs: 18
; ScratchSize: 0
; MemoryBound: 0
; FloatMode: 240
; IeeeMode: 1
; LDSByteSize: 0 bytes/workgroup (compile time only)
; SGPRBlocks: 0
; VGPRBlocks: 1
; NumSGPRsForWavesPerEU: 25
; NumVGPRsForWavesPerEU: 18
; NamedBarCnt: 0
; Occupancy: 16
; WaveLimiterHint : 0
; COMPUTE_PGM_RSRC2:SCRATCH_EN: 0
; COMPUTE_PGM_RSRC2:USER_SGPR: 2
; COMPUTE_PGM_RSRC2:TRAP_HANDLER: 0
; COMPUTE_PGM_RSRC2:TGID_X_EN: 1
; COMPUTE_PGM_RSRC2:TGID_Y_EN: 0
; COMPUTE_PGM_RSRC2:TGID_Z_EN: 0
; COMPUTE_PGM_RSRC2:TIDIG_COMP_CNT: 0
	.section	.text._ZN9rocsparseL23check_matrix_csr_deviceILj256ELj16EdliEEvT3_S1_T2_PKT1_PKS2_PKS1_S9_21rocsparse_index_base_22rocsparse_matrix_type_20rocsparse_fill_mode_23rocsparse_storage_mode_P22rocsparse_data_status_,"axG",@progbits,_ZN9rocsparseL23check_matrix_csr_deviceILj256ELj16EdliEEvT3_S1_T2_PKT1_PKS2_PKS1_S9_21rocsparse_index_base_22rocsparse_matrix_type_20rocsparse_fill_mode_23rocsparse_storage_mode_P22rocsparse_data_status_,comdat
	.globl	_ZN9rocsparseL23check_matrix_csr_deviceILj256ELj16EdliEEvT3_S1_T2_PKT1_PKS2_PKS1_S9_21rocsparse_index_base_22rocsparse_matrix_type_20rocsparse_fill_mode_23rocsparse_storage_mode_P22rocsparse_data_status_ ; -- Begin function _ZN9rocsparseL23check_matrix_csr_deviceILj256ELj16EdliEEvT3_S1_T2_PKT1_PKS2_PKS1_S9_21rocsparse_index_base_22rocsparse_matrix_type_20rocsparse_fill_mode_23rocsparse_storage_mode_P22rocsparse_data_status_
	.p2align	8
	.type	_ZN9rocsparseL23check_matrix_csr_deviceILj256ELj16EdliEEvT3_S1_T2_PKT1_PKS2_PKS1_S9_21rocsparse_index_base_22rocsparse_matrix_type_20rocsparse_fill_mode_23rocsparse_storage_mode_P22rocsparse_data_status_,@function
_ZN9rocsparseL23check_matrix_csr_deviceILj256ELj16EdliEEvT3_S1_T2_PKT1_PKS2_PKS1_S9_21rocsparse_index_base_22rocsparse_matrix_type_20rocsparse_fill_mode_23rocsparse_storage_mode_P22rocsparse_data_status_: ; @_ZN9rocsparseL23check_matrix_csr_deviceILj256ELj16EdliEEvT3_S1_T2_PKT1_PKS2_PKS1_S9_21rocsparse_index_base_22rocsparse_matrix_type_20rocsparse_fill_mode_23rocsparse_storage_mode_P22rocsparse_data_status_
; %bb.0:
	s_bfe_u32 s2, ttmp6, 0x4000c
	s_load_b64 s[12:13], s[0:1], 0x0
	s_add_co_i32 s2, s2, 1
	s_and_b32 s3, ttmp6, 15
	s_mul_i32 s2, ttmp9, s2
	s_getreg_b32 s4, hwreg(HW_REG_IB_STS2, 6, 4)
	s_add_co_i32 s3, s3, s2
	s_cmp_eq_u32 s4, 0
	s_cselect_b32 s2, ttmp9, s3
	s_delay_alu instid0(SALU_CYCLE_1) | instskip(SKIP_1) | instid1(VALU_DEP_1)
	v_lshl_or_b32 v1, s2, 8, v0
	s_mov_b32 s2, exec_lo
	v_lshrrev_b32_e32 v14, 4, v1
	s_wait_kmcnt 0x0
	s_delay_alu instid0(VALU_DEP_1)
	v_cmpx_gt_i32_e64 s12, v14
	s_cbranch_execz .LBB41_31
; %bb.1:
	s_load_b64 s[2:3], s[0:1], 0x18
	v_dual_lshlrev_b32 v1, 3, v14 :: v_dual_mov_b32 v15, 3
	s_wait_kmcnt 0x0
	global_load_b128 v[6:9], v1, s[2:3]
	s_wait_xcnt 0x0
	s_load_b64 s[2:3], s[2:3], 0x0
	s_wait_loadcnt 0x0
	s_wait_kmcnt 0x0
	v_sub_nc_u64_e64 v[2:3], v[8:9], s[2:3]
	v_sub_nc_u64_e64 v[4:5], v[6:7], s[2:3]
	v_cmp_lt_i64_e64 s2, v[8:9], v[6:7]
	s_delay_alu instid0(VALU_DEP_3) | instskip(NEXT) | instid1(VALU_DEP_3)
	v_cmp_gt_i64_e32 vcc_lo, 0, v[2:3]
	v_cmp_lt_i64_e64 s3, -1, v[4:5]
	s_or_b32 s2, vcc_lo, s2
	s_delay_alu instid0(SALU_CYCLE_1) | instskip(SKIP_2) | instid1(SALU_CYCLE_1)
	s_xor_b32 s4, s2, -1
	s_mov_b32 s2, -1
	s_and_b32 s3, s3, s4
	s_and_saveexec_b32 s12, s3
	s_cbranch_execz .LBB41_29
; %bb.2:
	v_dual_mov_b32 v1, 0 :: v_dual_bitop2_b32 v0, 15, v0 bitop3:0x40
	v_mov_b32_e32 v15, 3
	s_mov_b32 s2, 0
	s_mov_b32 s14, exec_lo
	s_delay_alu instid0(VALU_DEP_2) | instskip(NEXT) | instid1(VALU_DEP_1)
	v_add_nc_u64_e32 v[0:1], v[4:5], v[0:1]
	v_cmpx_lt_u64_e64 v[0:1], v[2:3]
	s_cbranch_execz .LBB41_28
; %bb.3:
	s_clause 0x1
	s_load_b256 s[4:11], s[0:1], 0x20
	s_load_b64 s[2:3], s[0:1], 0x10
	v_lshlrev_b64_e32 v[8:9], 2, v[0:1]
	s_wait_kmcnt 0x0
	s_delay_alu instid0(VALU_DEP_1)
	v_add_nc_u64_e32 v[6:7], s[6:7], v[8:9]
	s_cmp_lg_u32 s9, 0
	v_add_nc_u64_e32 v[8:9], s[4:5], v[8:9]
	s_cselect_b32 s6, -1, 0
	s_cmp_lg_u32 s10, 0
	v_lshl_add_u64 v[10:11], v[0:1], 3, s[2:3]
	s_cselect_b32 s4, -1, 0
	v_add_nc_u64_e32 v[6:7], -4, v[6:7]
	s_cmp_lg_u32 s11, 0
	s_mov_b32 s5, 0
	s_cselect_b32 s7, -1, 0
                                        ; implicit-def: $sgpr9
                                        ; implicit-def: $sgpr10
                                        ; implicit-def: $sgpr11
	s_branch .LBB41_10
.LBB41_4:                               ;   in Loop: Header=BB41_10 Depth=1
	s_or_b32 exec_lo, exec_lo, s3
	s_delay_alu instid0(SALU_CYCLE_1)
	s_or_not1_b32 s22, s2, exec_lo
	s_or_not1_b32 s2, s19, exec_lo
.LBB41_5:                               ;   in Loop: Header=BB41_10 Depth=1
	s_or_b32 exec_lo, exec_lo, s20
	s_delay_alu instid0(SALU_CYCLE_1)
	s_or_not1_b32 s3, s22, exec_lo
	s_or_not1_b32 s2, s2, exec_lo
.LBB41_6:                               ;   in Loop: Header=BB41_10 Depth=1
	s_or_b32 exec_lo, exec_lo, s18
	s_delay_alu instid0(SALU_CYCLE_1)
	s_or_not1_b32 s3, s3, exec_lo
	s_or_not1_b32 s2, s2, exec_lo
.LBB41_7:                               ;   in Loop: Header=BB41_10 Depth=1
	s_or_b32 exec_lo, exec_lo, s17
	s_delay_alu instid0(SALU_CYCLE_1)
	s_or_not1_b32 s3, s3, exec_lo
	s_or_not1_b32 s2, s2, exec_lo
.LBB41_8:                               ;   in Loop: Header=BB41_10 Depth=1
	s_or_b32 exec_lo, exec_lo, s16
	s_delay_alu instid0(SALU_CYCLE_1)
	s_and_not1_b32 s11, s11, exec_lo
	s_and_b32 s3, s3, exec_lo
	s_and_not1_b32 s10, s10, exec_lo
	s_and_b32 s2, s2, exec_lo
	s_or_b32 s11, s11, s3
	s_or_b32 s10, s10, s2
.LBB41_9:                               ;   in Loop: Header=BB41_10 Depth=1
	s_or_b32 exec_lo, exec_lo, s15
	s_delay_alu instid0(SALU_CYCLE_1) | instskip(NEXT) | instid1(SALU_CYCLE_1)
	s_and_b32 s2, exec_lo, s10
	s_or_b32 s5, s2, s5
	s_and_not1_b32 s2, s9, exec_lo
	s_and_b32 s3, s11, exec_lo
	s_delay_alu instid0(SALU_CYCLE_1)
	s_or_b32 s9, s2, s3
	s_and_not1_b32 exec_lo, exec_lo, s5
	s_cbranch_execz .LBB41_27
.LBB41_10:                              ; =>This Inner Loop Header: Depth=1
	global_load_b32 v16, v[8:9], off
	v_mov_b32_e32 v15, 4
	s_or_b32 s11, s11, exec_lo
	s_or_b32 s10, s10, exec_lo
	s_wait_loadcnt 0x0
	v_subrev_nc_u32_e32 v17, s8, v16
	s_delay_alu instid0(VALU_DEP_1) | instskip(SKIP_2) | instid1(SALU_CYCLE_1)
	v_cmp_lt_i32_e32 vcc_lo, -1, v17
	v_cmp_gt_i32_e64 s2, s13, v17
	s_and_b32 s2, vcc_lo, s2
	s_and_saveexec_b32 s15, s2
	s_cbranch_execz .LBB41_9
; %bb.11:                               ;   in Loop: Header=BB41_10 Depth=1
	v_cmp_le_i64_e64 s19, v[0:1], v[4:5]
	v_mov_b32_e32 v15, 4
	s_mov_b32 s16, exec_lo
	s_mov_b32 s17, s19
	v_cmpx_gt_i64_e64 v[0:1], v[4:5]
	s_cbranch_execz .LBB41_13
; %bb.12:                               ;   in Loop: Header=BB41_10 Depth=1
	global_load_b64 v[12:13], v[6:7], off
	s_wait_loadcnt 0x0
	v_subrev_nc_u32_e32 v15, s8, v12
	v_cmp_ne_u32_e64 s3, v13, v12
	s_delay_alu instid0(VALU_DEP_2) | instskip(SKIP_3) | instid1(SALU_CYCLE_1)
	v_cmp_lt_i32_e32 vcc_lo, -1, v15
	v_cmp_gt_i32_e64 s2, s13, v15
	v_mov_b32_e32 v15, 5
	s_and_b32 s2, vcc_lo, s2
	s_xor_b32 s2, s2, -1
	s_delay_alu instid0(SALU_CYCLE_1) | instskip(SKIP_2) | instid1(SALU_CYCLE_1)
	s_or_b32 s2, s3, s2
	s_and_not1_b32 s3, s19, exec_lo
	s_and_b32 s2, s2, exec_lo
	s_or_b32 s17, s3, s2
.LBB41_13:                              ;   in Loop: Header=BB41_10 Depth=1
	s_or_b32 exec_lo, exec_lo, s16
	s_mov_b32 s2, -1
	s_mov_b32 s3, -1
	s_and_saveexec_b32 s16, s17
	s_cbranch_execz .LBB41_8
; %bb.14:                               ;   in Loop: Header=BB41_10 Depth=1
	global_load_b64 v[12:13], v[10:11], off
	v_mov_b32_e32 v15, 1
	s_mov_b32 s17, exec_lo
	s_wait_loadcnt 0x0
	v_cmpx_neq_f64_e32 0x7ff00000, v[12:13]
	s_cbranch_execz .LBB41_7
; %bb.15:                               ;   in Loop: Header=BB41_10 Depth=1
	v_mov_b32_e32 v15, 2
	s_mov_b32 s18, exec_lo
	v_cmpx_o_f64_e32 v[12:13], v[12:13]
	s_cbranch_execz .LBB41_6
; %bb.16:                               ;   in Loop: Header=BB41_10 Depth=1
	s_and_b32 vcc_lo, exec_lo, s6
	s_cbranch_vccz .LBB41_19
; %bb.17:                               ;   in Loop: Header=BB41_10 Depth=1
	s_and_b32 vcc_lo, exec_lo, s4
	s_cbranch_vccz .LBB41_20
; %bb.18:                               ;   in Loop: Header=BB41_10 Depth=1
	v_cmp_le_i32_e32 vcc_lo, v14, v17
	s_mov_b32 s3, 7
	s_and_b32 s21, vcc_lo, exec_lo
	s_cbranch_execz .LBB41_21
	s_branch .LBB41_22
.LBB41_19:                              ;   in Loop: Header=BB41_10 Depth=1
	s_mov_b32 s3, 2
	s_mov_b32 s21, -1
	s_branch .LBB41_22
.LBB41_20:                              ;   in Loop: Header=BB41_10 Depth=1
	s_mov_b32 s21, 0
	s_mov_b32 s3, 2
.LBB41_21:                              ;   in Loop: Header=BB41_10 Depth=1
	v_cmp_ge_i32_e32 vcc_lo, v14, v17
	s_and_not1_b32 s20, s21, exec_lo
	s_mov_b32 s3, 7
	s_and_b32 s21, vcc_lo, exec_lo
	s_delay_alu instid0(SALU_CYCLE_1)
	s_or_b32 s21, s20, s21
.LBB41_22:                              ;   in Loop: Header=BB41_10 Depth=1
	v_mov_b32_e32 v15, s3
	s_mov_b32 s22, -1
	s_and_saveexec_b32 s20, s21
	s_cbranch_execz .LBB41_5
; %bb.23:                               ;   in Loop: Header=BB41_10 Depth=1
	v_mov_b32_e32 v15, s3
	s_nor_b32 s2, s7, s19
	s_mov_b32 s19, -1
	s_and_saveexec_b32 s21, s2
	s_cbranch_execz .LBB41_25
; %bb.24:                               ;   in Loop: Header=BB41_10 Depth=1
	global_load_b32 v12, v[8:9], off offset:-4
	v_mov_b32_e32 v15, 6
	s_wait_loadcnt 0x0
	v_subrev_nc_u32_e32 v13, s8, v12
	v_cmp_gt_i32_e64 s3, v16, v12
	s_delay_alu instid0(VALU_DEP_2) | instskip(SKIP_2) | instid1(SALU_CYCLE_1)
	v_cmp_lt_i32_e32 vcc_lo, -1, v13
	v_cmp_gt_i32_e64 s2, s13, v13
	s_and_b32 s2, vcc_lo, s2
	s_xor_b32 s2, s2, -1
	s_delay_alu instid0(SALU_CYCLE_1) | instskip(NEXT) | instid1(SALU_CYCLE_1)
	s_or_b32 s2, s3, s2
	s_or_not1_b32 s22, s2, exec_lo
.LBB41_25:                              ;   in Loop: Header=BB41_10 Depth=1
	s_or_b32 exec_lo, exec_lo, s21
	s_mov_b32 s2, -1
	s_and_saveexec_b32 s3, s22
	s_cbranch_execz .LBB41_4
; %bb.26:                               ;   in Loop: Header=BB41_10 Depth=1
	v_add_nc_u64_e32 v[0:1], 16, v[0:1]
	v_add_nc_u64_e32 v[6:7], 64, v[6:7]
	;; [unrolled: 1-line block ×4, first 2 shown]
	s_xor_b32 s2, exec_lo, -1
	s_delay_alu instid0(VALU_DEP_4)
	v_cmp_ge_i64_e32 vcc_lo, v[0:1], v[2:3]
	s_or_not1_b32 s19, vcc_lo, exec_lo
	s_branch .LBB41_4
.LBB41_27:
	s_or_b32 exec_lo, exec_lo, s5
	s_delay_alu instid0(SALU_CYCLE_1)
	s_and_b32 s2, s9, exec_lo
.LBB41_28:
	s_or_b32 exec_lo, exec_lo, s14
	s_delay_alu instid0(SALU_CYCLE_1)
	s_or_not1_b32 s2, s2, exec_lo
.LBB41_29:
	s_or_b32 exec_lo, exec_lo, s12
	s_delay_alu instid0(SALU_CYCLE_1)
	s_and_b32 exec_lo, exec_lo, s2
	s_cbranch_execz .LBB41_31
; %bb.30:
	s_load_b64 s[0:1], s[0:1], 0x40
	v_mov_b32_e32 v0, 0
	s_wait_kmcnt 0x0
	global_store_b32 v0, v15, s[0:1]
.LBB41_31:
	s_endpgm
	.section	.rodata,"a",@progbits
	.p2align	6, 0x0
	.amdhsa_kernel _ZN9rocsparseL23check_matrix_csr_deviceILj256ELj16EdliEEvT3_S1_T2_PKT1_PKS2_PKS1_S9_21rocsparse_index_base_22rocsparse_matrix_type_20rocsparse_fill_mode_23rocsparse_storage_mode_P22rocsparse_data_status_
		.amdhsa_group_segment_fixed_size 0
		.amdhsa_private_segment_fixed_size 0
		.amdhsa_kernarg_size 72
		.amdhsa_user_sgpr_count 2
		.amdhsa_user_sgpr_dispatch_ptr 0
		.amdhsa_user_sgpr_queue_ptr 0
		.amdhsa_user_sgpr_kernarg_segment_ptr 1
		.amdhsa_user_sgpr_dispatch_id 0
		.amdhsa_user_sgpr_kernarg_preload_length 0
		.amdhsa_user_sgpr_kernarg_preload_offset 0
		.amdhsa_user_sgpr_private_segment_size 0
		.amdhsa_wavefront_size32 1
		.amdhsa_uses_dynamic_stack 0
		.amdhsa_enable_private_segment 0
		.amdhsa_system_sgpr_workgroup_id_x 1
		.amdhsa_system_sgpr_workgroup_id_y 0
		.amdhsa_system_sgpr_workgroup_id_z 0
		.amdhsa_system_sgpr_workgroup_info 0
		.amdhsa_system_vgpr_workitem_id 0
		.amdhsa_next_free_vgpr 18
		.amdhsa_next_free_sgpr 23
		.amdhsa_named_barrier_count 0
		.amdhsa_reserve_vcc 1
		.amdhsa_float_round_mode_32 0
		.amdhsa_float_round_mode_16_64 0
		.amdhsa_float_denorm_mode_32 3
		.amdhsa_float_denorm_mode_16_64 3
		.amdhsa_fp16_overflow 0
		.amdhsa_memory_ordered 1
		.amdhsa_forward_progress 1
		.amdhsa_inst_pref_size 8
		.amdhsa_round_robin_scheduling 0
		.amdhsa_exception_fp_ieee_invalid_op 0
		.amdhsa_exception_fp_denorm_src 0
		.amdhsa_exception_fp_ieee_div_zero 0
		.amdhsa_exception_fp_ieee_overflow 0
		.amdhsa_exception_fp_ieee_underflow 0
		.amdhsa_exception_fp_ieee_inexact 0
		.amdhsa_exception_int_div_zero 0
	.end_amdhsa_kernel
	.section	.text._ZN9rocsparseL23check_matrix_csr_deviceILj256ELj16EdliEEvT3_S1_T2_PKT1_PKS2_PKS1_S9_21rocsparse_index_base_22rocsparse_matrix_type_20rocsparse_fill_mode_23rocsparse_storage_mode_P22rocsparse_data_status_,"axG",@progbits,_ZN9rocsparseL23check_matrix_csr_deviceILj256ELj16EdliEEvT3_S1_T2_PKT1_PKS2_PKS1_S9_21rocsparse_index_base_22rocsparse_matrix_type_20rocsparse_fill_mode_23rocsparse_storage_mode_P22rocsparse_data_status_,comdat
.Lfunc_end41:
	.size	_ZN9rocsparseL23check_matrix_csr_deviceILj256ELj16EdliEEvT3_S1_T2_PKT1_PKS2_PKS1_S9_21rocsparse_index_base_22rocsparse_matrix_type_20rocsparse_fill_mode_23rocsparse_storage_mode_P22rocsparse_data_status_, .Lfunc_end41-_ZN9rocsparseL23check_matrix_csr_deviceILj256ELj16EdliEEvT3_S1_T2_PKT1_PKS2_PKS1_S9_21rocsparse_index_base_22rocsparse_matrix_type_20rocsparse_fill_mode_23rocsparse_storage_mode_P22rocsparse_data_status_
                                        ; -- End function
	.set _ZN9rocsparseL23check_matrix_csr_deviceILj256ELj16EdliEEvT3_S1_T2_PKT1_PKS2_PKS1_S9_21rocsparse_index_base_22rocsparse_matrix_type_20rocsparse_fill_mode_23rocsparse_storage_mode_P22rocsparse_data_status_.num_vgpr, 18
	.set _ZN9rocsparseL23check_matrix_csr_deviceILj256ELj16EdliEEvT3_S1_T2_PKT1_PKS2_PKS1_S9_21rocsparse_index_base_22rocsparse_matrix_type_20rocsparse_fill_mode_23rocsparse_storage_mode_P22rocsparse_data_status_.num_agpr, 0
	.set _ZN9rocsparseL23check_matrix_csr_deviceILj256ELj16EdliEEvT3_S1_T2_PKT1_PKS2_PKS1_S9_21rocsparse_index_base_22rocsparse_matrix_type_20rocsparse_fill_mode_23rocsparse_storage_mode_P22rocsparse_data_status_.numbered_sgpr, 23
	.set _ZN9rocsparseL23check_matrix_csr_deviceILj256ELj16EdliEEvT3_S1_T2_PKT1_PKS2_PKS1_S9_21rocsparse_index_base_22rocsparse_matrix_type_20rocsparse_fill_mode_23rocsparse_storage_mode_P22rocsparse_data_status_.num_named_barrier, 0
	.set _ZN9rocsparseL23check_matrix_csr_deviceILj256ELj16EdliEEvT3_S1_T2_PKT1_PKS2_PKS1_S9_21rocsparse_index_base_22rocsparse_matrix_type_20rocsparse_fill_mode_23rocsparse_storage_mode_P22rocsparse_data_status_.private_seg_size, 0
	.set _ZN9rocsparseL23check_matrix_csr_deviceILj256ELj16EdliEEvT3_S1_T2_PKT1_PKS2_PKS1_S9_21rocsparse_index_base_22rocsparse_matrix_type_20rocsparse_fill_mode_23rocsparse_storage_mode_P22rocsparse_data_status_.uses_vcc, 1
	.set _ZN9rocsparseL23check_matrix_csr_deviceILj256ELj16EdliEEvT3_S1_T2_PKT1_PKS2_PKS1_S9_21rocsparse_index_base_22rocsparse_matrix_type_20rocsparse_fill_mode_23rocsparse_storage_mode_P22rocsparse_data_status_.uses_flat_scratch, 0
	.set _ZN9rocsparseL23check_matrix_csr_deviceILj256ELj16EdliEEvT3_S1_T2_PKT1_PKS2_PKS1_S9_21rocsparse_index_base_22rocsparse_matrix_type_20rocsparse_fill_mode_23rocsparse_storage_mode_P22rocsparse_data_status_.has_dyn_sized_stack, 0
	.set _ZN9rocsparseL23check_matrix_csr_deviceILj256ELj16EdliEEvT3_S1_T2_PKT1_PKS2_PKS1_S9_21rocsparse_index_base_22rocsparse_matrix_type_20rocsparse_fill_mode_23rocsparse_storage_mode_P22rocsparse_data_status_.has_recursion, 0
	.set _ZN9rocsparseL23check_matrix_csr_deviceILj256ELj16EdliEEvT3_S1_T2_PKT1_PKS2_PKS1_S9_21rocsparse_index_base_22rocsparse_matrix_type_20rocsparse_fill_mode_23rocsparse_storage_mode_P22rocsparse_data_status_.has_indirect_call, 0
	.section	.AMDGPU.csdata,"",@progbits
; Kernel info:
; codeLenInByte = 1024
; TotalNumSgprs: 25
; NumVgprs: 18
; ScratchSize: 0
; MemoryBound: 0
; FloatMode: 240
; IeeeMode: 1
; LDSByteSize: 0 bytes/workgroup (compile time only)
; SGPRBlocks: 0
; VGPRBlocks: 1
; NumSGPRsForWavesPerEU: 25
; NumVGPRsForWavesPerEU: 18
; NamedBarCnt: 0
; Occupancy: 16
; WaveLimiterHint : 0
; COMPUTE_PGM_RSRC2:SCRATCH_EN: 0
; COMPUTE_PGM_RSRC2:USER_SGPR: 2
; COMPUTE_PGM_RSRC2:TRAP_HANDLER: 0
; COMPUTE_PGM_RSRC2:TGID_X_EN: 1
; COMPUTE_PGM_RSRC2:TGID_Y_EN: 0
; COMPUTE_PGM_RSRC2:TGID_Z_EN: 0
; COMPUTE_PGM_RSRC2:TIDIG_COMP_CNT: 0
	.section	.text._ZN9rocsparseL23check_matrix_csr_deviceILj256ELj32EdliEEvT3_S1_T2_PKT1_PKS2_PKS1_S9_21rocsparse_index_base_22rocsparse_matrix_type_20rocsparse_fill_mode_23rocsparse_storage_mode_P22rocsparse_data_status_,"axG",@progbits,_ZN9rocsparseL23check_matrix_csr_deviceILj256ELj32EdliEEvT3_S1_T2_PKT1_PKS2_PKS1_S9_21rocsparse_index_base_22rocsparse_matrix_type_20rocsparse_fill_mode_23rocsparse_storage_mode_P22rocsparse_data_status_,comdat
	.globl	_ZN9rocsparseL23check_matrix_csr_deviceILj256ELj32EdliEEvT3_S1_T2_PKT1_PKS2_PKS1_S9_21rocsparse_index_base_22rocsparse_matrix_type_20rocsparse_fill_mode_23rocsparse_storage_mode_P22rocsparse_data_status_ ; -- Begin function _ZN9rocsparseL23check_matrix_csr_deviceILj256ELj32EdliEEvT3_S1_T2_PKT1_PKS2_PKS1_S9_21rocsparse_index_base_22rocsparse_matrix_type_20rocsparse_fill_mode_23rocsparse_storage_mode_P22rocsparse_data_status_
	.p2align	8
	.type	_ZN9rocsparseL23check_matrix_csr_deviceILj256ELj32EdliEEvT3_S1_T2_PKT1_PKS2_PKS1_S9_21rocsparse_index_base_22rocsparse_matrix_type_20rocsparse_fill_mode_23rocsparse_storage_mode_P22rocsparse_data_status_,@function
_ZN9rocsparseL23check_matrix_csr_deviceILj256ELj32EdliEEvT3_S1_T2_PKT1_PKS2_PKS1_S9_21rocsparse_index_base_22rocsparse_matrix_type_20rocsparse_fill_mode_23rocsparse_storage_mode_P22rocsparse_data_status_: ; @_ZN9rocsparseL23check_matrix_csr_deviceILj256ELj32EdliEEvT3_S1_T2_PKT1_PKS2_PKS1_S9_21rocsparse_index_base_22rocsparse_matrix_type_20rocsparse_fill_mode_23rocsparse_storage_mode_P22rocsparse_data_status_
; %bb.0:
	s_bfe_u32 s2, ttmp6, 0x4000c
	s_load_b64 s[12:13], s[0:1], 0x0
	s_add_co_i32 s2, s2, 1
	s_and_b32 s3, ttmp6, 15
	s_mul_i32 s2, ttmp9, s2
	s_getreg_b32 s4, hwreg(HW_REG_IB_STS2, 6, 4)
	s_add_co_i32 s3, s3, s2
	s_cmp_eq_u32 s4, 0
	s_cselect_b32 s2, ttmp9, s3
	s_delay_alu instid0(SALU_CYCLE_1) | instskip(SKIP_1) | instid1(VALU_DEP_1)
	v_lshl_or_b32 v1, s2, 8, v0
	s_mov_b32 s2, exec_lo
	v_lshrrev_b32_e32 v14, 5, v1
	s_wait_kmcnt 0x0
	s_delay_alu instid0(VALU_DEP_1)
	v_cmpx_gt_i32_e64 s12, v14
	s_cbranch_execz .LBB42_31
; %bb.1:
	s_load_b64 s[2:3], s[0:1], 0x18
	v_dual_lshlrev_b32 v1, 3, v14 :: v_dual_mov_b32 v15, 3
	s_wait_kmcnt 0x0
	global_load_b128 v[6:9], v1, s[2:3]
	s_wait_xcnt 0x0
	s_load_b64 s[2:3], s[2:3], 0x0
	s_wait_loadcnt 0x0
	s_wait_kmcnt 0x0
	v_sub_nc_u64_e64 v[2:3], v[8:9], s[2:3]
	v_sub_nc_u64_e64 v[4:5], v[6:7], s[2:3]
	v_cmp_lt_i64_e64 s2, v[8:9], v[6:7]
	s_delay_alu instid0(VALU_DEP_3) | instskip(NEXT) | instid1(VALU_DEP_3)
	v_cmp_gt_i64_e32 vcc_lo, 0, v[2:3]
	v_cmp_lt_i64_e64 s3, -1, v[4:5]
	s_or_b32 s2, vcc_lo, s2
	s_delay_alu instid0(SALU_CYCLE_1) | instskip(SKIP_2) | instid1(SALU_CYCLE_1)
	s_xor_b32 s4, s2, -1
	s_mov_b32 s2, -1
	s_and_b32 s3, s3, s4
	s_and_saveexec_b32 s12, s3
	s_cbranch_execz .LBB42_29
; %bb.2:
	v_dual_mov_b32 v1, 0 :: v_dual_bitop2_b32 v0, 31, v0 bitop3:0x40
	v_mov_b32_e32 v15, 3
	s_mov_b32 s2, 0
	s_mov_b32 s14, exec_lo
	s_delay_alu instid0(VALU_DEP_2) | instskip(NEXT) | instid1(VALU_DEP_1)
	v_add_nc_u64_e32 v[0:1], v[4:5], v[0:1]
	v_cmpx_lt_u64_e64 v[0:1], v[2:3]
	s_cbranch_execz .LBB42_28
; %bb.3:
	s_clause 0x1
	s_load_b256 s[4:11], s[0:1], 0x20
	s_load_b64 s[2:3], s[0:1], 0x10
	v_lshlrev_b64_e32 v[8:9], 2, v[0:1]
	s_wait_kmcnt 0x0
	s_delay_alu instid0(VALU_DEP_1)
	v_add_nc_u64_e32 v[6:7], s[6:7], v[8:9]
	s_cmp_lg_u32 s9, 0
	v_add_nc_u64_e32 v[8:9], s[4:5], v[8:9]
	s_cselect_b32 s6, -1, 0
	s_cmp_lg_u32 s10, 0
	v_lshl_add_u64 v[10:11], v[0:1], 3, s[2:3]
	s_cselect_b32 s4, -1, 0
	v_add_nc_u64_e32 v[6:7], -4, v[6:7]
	s_cmp_lg_u32 s11, 0
	s_mov_b32 s5, 0
	s_cselect_b32 s7, -1, 0
                                        ; implicit-def: $sgpr9
                                        ; implicit-def: $sgpr10
                                        ; implicit-def: $sgpr11
	s_branch .LBB42_10
.LBB42_4:                               ;   in Loop: Header=BB42_10 Depth=1
	s_or_b32 exec_lo, exec_lo, s3
	s_delay_alu instid0(SALU_CYCLE_1)
	s_or_not1_b32 s22, s2, exec_lo
	s_or_not1_b32 s2, s19, exec_lo
.LBB42_5:                               ;   in Loop: Header=BB42_10 Depth=1
	s_or_b32 exec_lo, exec_lo, s20
	s_delay_alu instid0(SALU_CYCLE_1)
	s_or_not1_b32 s3, s22, exec_lo
	s_or_not1_b32 s2, s2, exec_lo
.LBB42_6:                               ;   in Loop: Header=BB42_10 Depth=1
	s_or_b32 exec_lo, exec_lo, s18
	s_delay_alu instid0(SALU_CYCLE_1)
	s_or_not1_b32 s3, s3, exec_lo
	s_or_not1_b32 s2, s2, exec_lo
.LBB42_7:                               ;   in Loop: Header=BB42_10 Depth=1
	s_or_b32 exec_lo, exec_lo, s17
	s_delay_alu instid0(SALU_CYCLE_1)
	s_or_not1_b32 s3, s3, exec_lo
	s_or_not1_b32 s2, s2, exec_lo
.LBB42_8:                               ;   in Loop: Header=BB42_10 Depth=1
	s_or_b32 exec_lo, exec_lo, s16
	s_delay_alu instid0(SALU_CYCLE_1)
	s_and_not1_b32 s11, s11, exec_lo
	s_and_b32 s3, s3, exec_lo
	s_and_not1_b32 s10, s10, exec_lo
	s_and_b32 s2, s2, exec_lo
	s_or_b32 s11, s11, s3
	s_or_b32 s10, s10, s2
.LBB42_9:                               ;   in Loop: Header=BB42_10 Depth=1
	s_or_b32 exec_lo, exec_lo, s15
	s_delay_alu instid0(SALU_CYCLE_1) | instskip(NEXT) | instid1(SALU_CYCLE_1)
	s_and_b32 s2, exec_lo, s10
	s_or_b32 s5, s2, s5
	s_and_not1_b32 s2, s9, exec_lo
	s_and_b32 s3, s11, exec_lo
	s_delay_alu instid0(SALU_CYCLE_1)
	s_or_b32 s9, s2, s3
	s_and_not1_b32 exec_lo, exec_lo, s5
	s_cbranch_execz .LBB42_27
.LBB42_10:                              ; =>This Inner Loop Header: Depth=1
	global_load_b32 v16, v[8:9], off
	v_mov_b32_e32 v15, 4
	s_or_b32 s11, s11, exec_lo
	s_or_b32 s10, s10, exec_lo
	s_wait_loadcnt 0x0
	v_subrev_nc_u32_e32 v17, s8, v16
	s_delay_alu instid0(VALU_DEP_1) | instskip(SKIP_2) | instid1(SALU_CYCLE_1)
	v_cmp_lt_i32_e32 vcc_lo, -1, v17
	v_cmp_gt_i32_e64 s2, s13, v17
	s_and_b32 s2, vcc_lo, s2
	s_and_saveexec_b32 s15, s2
	s_cbranch_execz .LBB42_9
; %bb.11:                               ;   in Loop: Header=BB42_10 Depth=1
	v_cmp_le_i64_e64 s19, v[0:1], v[4:5]
	v_mov_b32_e32 v15, 4
	s_mov_b32 s16, exec_lo
	s_mov_b32 s17, s19
	v_cmpx_gt_i64_e64 v[0:1], v[4:5]
	s_cbranch_execz .LBB42_13
; %bb.12:                               ;   in Loop: Header=BB42_10 Depth=1
	global_load_b64 v[12:13], v[6:7], off
	s_wait_loadcnt 0x0
	v_subrev_nc_u32_e32 v15, s8, v12
	v_cmp_ne_u32_e64 s3, v13, v12
	s_delay_alu instid0(VALU_DEP_2) | instskip(SKIP_3) | instid1(SALU_CYCLE_1)
	v_cmp_lt_i32_e32 vcc_lo, -1, v15
	v_cmp_gt_i32_e64 s2, s13, v15
	v_mov_b32_e32 v15, 5
	s_and_b32 s2, vcc_lo, s2
	s_xor_b32 s2, s2, -1
	s_delay_alu instid0(SALU_CYCLE_1) | instskip(SKIP_2) | instid1(SALU_CYCLE_1)
	s_or_b32 s2, s3, s2
	s_and_not1_b32 s3, s19, exec_lo
	s_and_b32 s2, s2, exec_lo
	s_or_b32 s17, s3, s2
.LBB42_13:                              ;   in Loop: Header=BB42_10 Depth=1
	s_or_b32 exec_lo, exec_lo, s16
	s_mov_b32 s2, -1
	s_mov_b32 s3, -1
	s_and_saveexec_b32 s16, s17
	s_cbranch_execz .LBB42_8
; %bb.14:                               ;   in Loop: Header=BB42_10 Depth=1
	global_load_b64 v[12:13], v[10:11], off
	v_mov_b32_e32 v15, 1
	s_mov_b32 s17, exec_lo
	s_wait_loadcnt 0x0
	v_cmpx_neq_f64_e32 0x7ff00000, v[12:13]
	s_cbranch_execz .LBB42_7
; %bb.15:                               ;   in Loop: Header=BB42_10 Depth=1
	v_mov_b32_e32 v15, 2
	s_mov_b32 s18, exec_lo
	v_cmpx_o_f64_e32 v[12:13], v[12:13]
	s_cbranch_execz .LBB42_6
; %bb.16:                               ;   in Loop: Header=BB42_10 Depth=1
	s_and_b32 vcc_lo, exec_lo, s6
	s_cbranch_vccz .LBB42_19
; %bb.17:                               ;   in Loop: Header=BB42_10 Depth=1
	s_and_b32 vcc_lo, exec_lo, s4
	s_cbranch_vccz .LBB42_20
; %bb.18:                               ;   in Loop: Header=BB42_10 Depth=1
	v_cmp_le_i32_e32 vcc_lo, v14, v17
	s_mov_b32 s3, 7
	s_and_b32 s21, vcc_lo, exec_lo
	s_cbranch_execz .LBB42_21
	s_branch .LBB42_22
.LBB42_19:                              ;   in Loop: Header=BB42_10 Depth=1
	s_mov_b32 s3, 2
	s_mov_b32 s21, -1
	s_branch .LBB42_22
.LBB42_20:                              ;   in Loop: Header=BB42_10 Depth=1
	s_mov_b32 s21, 0
	s_mov_b32 s3, 2
.LBB42_21:                              ;   in Loop: Header=BB42_10 Depth=1
	v_cmp_ge_i32_e32 vcc_lo, v14, v17
	s_and_not1_b32 s20, s21, exec_lo
	s_mov_b32 s3, 7
	s_and_b32 s21, vcc_lo, exec_lo
	s_delay_alu instid0(SALU_CYCLE_1)
	s_or_b32 s21, s20, s21
.LBB42_22:                              ;   in Loop: Header=BB42_10 Depth=1
	v_mov_b32_e32 v15, s3
	s_mov_b32 s22, -1
	s_and_saveexec_b32 s20, s21
	s_cbranch_execz .LBB42_5
; %bb.23:                               ;   in Loop: Header=BB42_10 Depth=1
	v_mov_b32_e32 v15, s3
	s_nor_b32 s2, s7, s19
	s_mov_b32 s19, -1
	s_and_saveexec_b32 s21, s2
	s_cbranch_execz .LBB42_25
; %bb.24:                               ;   in Loop: Header=BB42_10 Depth=1
	global_load_b32 v12, v[8:9], off offset:-4
	v_mov_b32_e32 v15, 6
	s_wait_loadcnt 0x0
	v_subrev_nc_u32_e32 v13, s8, v12
	v_cmp_gt_i32_e64 s3, v16, v12
	s_delay_alu instid0(VALU_DEP_2) | instskip(SKIP_2) | instid1(SALU_CYCLE_1)
	v_cmp_lt_i32_e32 vcc_lo, -1, v13
	v_cmp_gt_i32_e64 s2, s13, v13
	s_and_b32 s2, vcc_lo, s2
	s_xor_b32 s2, s2, -1
	s_delay_alu instid0(SALU_CYCLE_1) | instskip(NEXT) | instid1(SALU_CYCLE_1)
	s_or_b32 s2, s3, s2
	s_or_not1_b32 s22, s2, exec_lo
.LBB42_25:                              ;   in Loop: Header=BB42_10 Depth=1
	s_or_b32 exec_lo, exec_lo, s21
	s_mov_b32 s2, -1
	s_and_saveexec_b32 s3, s22
	s_cbranch_execz .LBB42_4
; %bb.26:                               ;   in Loop: Header=BB42_10 Depth=1
	v_add_nc_u64_e32 v[0:1], 32, v[0:1]
	v_add_nc_u64_e32 v[6:7], 0x80, v[6:7]
	;; [unrolled: 1-line block ×4, first 2 shown]
	s_xor_b32 s2, exec_lo, -1
	s_delay_alu instid0(VALU_DEP_4)
	v_cmp_ge_i64_e32 vcc_lo, v[0:1], v[2:3]
	s_or_not1_b32 s19, vcc_lo, exec_lo
	s_branch .LBB42_4
.LBB42_27:
	s_or_b32 exec_lo, exec_lo, s5
	s_delay_alu instid0(SALU_CYCLE_1)
	s_and_b32 s2, s9, exec_lo
.LBB42_28:
	s_or_b32 exec_lo, exec_lo, s14
	s_delay_alu instid0(SALU_CYCLE_1)
	s_or_not1_b32 s2, s2, exec_lo
.LBB42_29:
	s_or_b32 exec_lo, exec_lo, s12
	s_delay_alu instid0(SALU_CYCLE_1)
	s_and_b32 exec_lo, exec_lo, s2
	s_cbranch_execz .LBB42_31
; %bb.30:
	s_load_b64 s[0:1], s[0:1], 0x40
	v_mov_b32_e32 v0, 0
	s_wait_kmcnt 0x0
	global_store_b32 v0, v15, s[0:1]
.LBB42_31:
	s_endpgm
	.section	.rodata,"a",@progbits
	.p2align	6, 0x0
	.amdhsa_kernel _ZN9rocsparseL23check_matrix_csr_deviceILj256ELj32EdliEEvT3_S1_T2_PKT1_PKS2_PKS1_S9_21rocsparse_index_base_22rocsparse_matrix_type_20rocsparse_fill_mode_23rocsparse_storage_mode_P22rocsparse_data_status_
		.amdhsa_group_segment_fixed_size 0
		.amdhsa_private_segment_fixed_size 0
		.amdhsa_kernarg_size 72
		.amdhsa_user_sgpr_count 2
		.amdhsa_user_sgpr_dispatch_ptr 0
		.amdhsa_user_sgpr_queue_ptr 0
		.amdhsa_user_sgpr_kernarg_segment_ptr 1
		.amdhsa_user_sgpr_dispatch_id 0
		.amdhsa_user_sgpr_kernarg_preload_length 0
		.amdhsa_user_sgpr_kernarg_preload_offset 0
		.amdhsa_user_sgpr_private_segment_size 0
		.amdhsa_wavefront_size32 1
		.amdhsa_uses_dynamic_stack 0
		.amdhsa_enable_private_segment 0
		.amdhsa_system_sgpr_workgroup_id_x 1
		.amdhsa_system_sgpr_workgroup_id_y 0
		.amdhsa_system_sgpr_workgroup_id_z 0
		.amdhsa_system_sgpr_workgroup_info 0
		.amdhsa_system_vgpr_workitem_id 0
		.amdhsa_next_free_vgpr 18
		.amdhsa_next_free_sgpr 23
		.amdhsa_named_barrier_count 0
		.amdhsa_reserve_vcc 1
		.amdhsa_float_round_mode_32 0
		.amdhsa_float_round_mode_16_64 0
		.amdhsa_float_denorm_mode_32 3
		.amdhsa_float_denorm_mode_16_64 3
		.amdhsa_fp16_overflow 0
		.amdhsa_memory_ordered 1
		.amdhsa_forward_progress 1
		.amdhsa_inst_pref_size 9
		.amdhsa_round_robin_scheduling 0
		.amdhsa_exception_fp_ieee_invalid_op 0
		.amdhsa_exception_fp_denorm_src 0
		.amdhsa_exception_fp_ieee_div_zero 0
		.amdhsa_exception_fp_ieee_overflow 0
		.amdhsa_exception_fp_ieee_underflow 0
		.amdhsa_exception_fp_ieee_inexact 0
		.amdhsa_exception_int_div_zero 0
	.end_amdhsa_kernel
	.section	.text._ZN9rocsparseL23check_matrix_csr_deviceILj256ELj32EdliEEvT3_S1_T2_PKT1_PKS2_PKS1_S9_21rocsparse_index_base_22rocsparse_matrix_type_20rocsparse_fill_mode_23rocsparse_storage_mode_P22rocsparse_data_status_,"axG",@progbits,_ZN9rocsparseL23check_matrix_csr_deviceILj256ELj32EdliEEvT3_S1_T2_PKT1_PKS2_PKS1_S9_21rocsparse_index_base_22rocsparse_matrix_type_20rocsparse_fill_mode_23rocsparse_storage_mode_P22rocsparse_data_status_,comdat
.Lfunc_end42:
	.size	_ZN9rocsparseL23check_matrix_csr_deviceILj256ELj32EdliEEvT3_S1_T2_PKT1_PKS2_PKS1_S9_21rocsparse_index_base_22rocsparse_matrix_type_20rocsparse_fill_mode_23rocsparse_storage_mode_P22rocsparse_data_status_, .Lfunc_end42-_ZN9rocsparseL23check_matrix_csr_deviceILj256ELj32EdliEEvT3_S1_T2_PKT1_PKS2_PKS1_S9_21rocsparse_index_base_22rocsparse_matrix_type_20rocsparse_fill_mode_23rocsparse_storage_mode_P22rocsparse_data_status_
                                        ; -- End function
	.set _ZN9rocsparseL23check_matrix_csr_deviceILj256ELj32EdliEEvT3_S1_T2_PKT1_PKS2_PKS1_S9_21rocsparse_index_base_22rocsparse_matrix_type_20rocsparse_fill_mode_23rocsparse_storage_mode_P22rocsparse_data_status_.num_vgpr, 18
	.set _ZN9rocsparseL23check_matrix_csr_deviceILj256ELj32EdliEEvT3_S1_T2_PKT1_PKS2_PKS1_S9_21rocsparse_index_base_22rocsparse_matrix_type_20rocsparse_fill_mode_23rocsparse_storage_mode_P22rocsparse_data_status_.num_agpr, 0
	.set _ZN9rocsparseL23check_matrix_csr_deviceILj256ELj32EdliEEvT3_S1_T2_PKT1_PKS2_PKS1_S9_21rocsparse_index_base_22rocsparse_matrix_type_20rocsparse_fill_mode_23rocsparse_storage_mode_P22rocsparse_data_status_.numbered_sgpr, 23
	.set _ZN9rocsparseL23check_matrix_csr_deviceILj256ELj32EdliEEvT3_S1_T2_PKT1_PKS2_PKS1_S9_21rocsparse_index_base_22rocsparse_matrix_type_20rocsparse_fill_mode_23rocsparse_storage_mode_P22rocsparse_data_status_.num_named_barrier, 0
	.set _ZN9rocsparseL23check_matrix_csr_deviceILj256ELj32EdliEEvT3_S1_T2_PKT1_PKS2_PKS1_S9_21rocsparse_index_base_22rocsparse_matrix_type_20rocsparse_fill_mode_23rocsparse_storage_mode_P22rocsparse_data_status_.private_seg_size, 0
	.set _ZN9rocsparseL23check_matrix_csr_deviceILj256ELj32EdliEEvT3_S1_T2_PKT1_PKS2_PKS1_S9_21rocsparse_index_base_22rocsparse_matrix_type_20rocsparse_fill_mode_23rocsparse_storage_mode_P22rocsparse_data_status_.uses_vcc, 1
	.set _ZN9rocsparseL23check_matrix_csr_deviceILj256ELj32EdliEEvT3_S1_T2_PKT1_PKS2_PKS1_S9_21rocsparse_index_base_22rocsparse_matrix_type_20rocsparse_fill_mode_23rocsparse_storage_mode_P22rocsparse_data_status_.uses_flat_scratch, 0
	.set _ZN9rocsparseL23check_matrix_csr_deviceILj256ELj32EdliEEvT3_S1_T2_PKT1_PKS2_PKS1_S9_21rocsparse_index_base_22rocsparse_matrix_type_20rocsparse_fill_mode_23rocsparse_storage_mode_P22rocsparse_data_status_.has_dyn_sized_stack, 0
	.set _ZN9rocsparseL23check_matrix_csr_deviceILj256ELj32EdliEEvT3_S1_T2_PKT1_PKS2_PKS1_S9_21rocsparse_index_base_22rocsparse_matrix_type_20rocsparse_fill_mode_23rocsparse_storage_mode_P22rocsparse_data_status_.has_recursion, 0
	.set _ZN9rocsparseL23check_matrix_csr_deviceILj256ELj32EdliEEvT3_S1_T2_PKT1_PKS2_PKS1_S9_21rocsparse_index_base_22rocsparse_matrix_type_20rocsparse_fill_mode_23rocsparse_storage_mode_P22rocsparse_data_status_.has_indirect_call, 0
	.section	.AMDGPU.csdata,"",@progbits
; Kernel info:
; codeLenInByte = 1032
; TotalNumSgprs: 25
; NumVgprs: 18
; ScratchSize: 0
; MemoryBound: 0
; FloatMode: 240
; IeeeMode: 1
; LDSByteSize: 0 bytes/workgroup (compile time only)
; SGPRBlocks: 0
; VGPRBlocks: 1
; NumSGPRsForWavesPerEU: 25
; NumVGPRsForWavesPerEU: 18
; NamedBarCnt: 0
; Occupancy: 16
; WaveLimiterHint : 0
; COMPUTE_PGM_RSRC2:SCRATCH_EN: 0
; COMPUTE_PGM_RSRC2:USER_SGPR: 2
; COMPUTE_PGM_RSRC2:TRAP_HANDLER: 0
; COMPUTE_PGM_RSRC2:TGID_X_EN: 1
; COMPUTE_PGM_RSRC2:TGID_Y_EN: 0
; COMPUTE_PGM_RSRC2:TGID_Z_EN: 0
; COMPUTE_PGM_RSRC2:TIDIG_COMP_CNT: 0
	.section	.text._ZN9rocsparseL23check_matrix_csr_deviceILj256ELj64EdliEEvT3_S1_T2_PKT1_PKS2_PKS1_S9_21rocsparse_index_base_22rocsparse_matrix_type_20rocsparse_fill_mode_23rocsparse_storage_mode_P22rocsparse_data_status_,"axG",@progbits,_ZN9rocsparseL23check_matrix_csr_deviceILj256ELj64EdliEEvT3_S1_T2_PKT1_PKS2_PKS1_S9_21rocsparse_index_base_22rocsparse_matrix_type_20rocsparse_fill_mode_23rocsparse_storage_mode_P22rocsparse_data_status_,comdat
	.globl	_ZN9rocsparseL23check_matrix_csr_deviceILj256ELj64EdliEEvT3_S1_T2_PKT1_PKS2_PKS1_S9_21rocsparse_index_base_22rocsparse_matrix_type_20rocsparse_fill_mode_23rocsparse_storage_mode_P22rocsparse_data_status_ ; -- Begin function _ZN9rocsparseL23check_matrix_csr_deviceILj256ELj64EdliEEvT3_S1_T2_PKT1_PKS2_PKS1_S9_21rocsparse_index_base_22rocsparse_matrix_type_20rocsparse_fill_mode_23rocsparse_storage_mode_P22rocsparse_data_status_
	.p2align	8
	.type	_ZN9rocsparseL23check_matrix_csr_deviceILj256ELj64EdliEEvT3_S1_T2_PKT1_PKS2_PKS1_S9_21rocsparse_index_base_22rocsparse_matrix_type_20rocsparse_fill_mode_23rocsparse_storage_mode_P22rocsparse_data_status_,@function
_ZN9rocsparseL23check_matrix_csr_deviceILj256ELj64EdliEEvT3_S1_T2_PKT1_PKS2_PKS1_S9_21rocsparse_index_base_22rocsparse_matrix_type_20rocsparse_fill_mode_23rocsparse_storage_mode_P22rocsparse_data_status_: ; @_ZN9rocsparseL23check_matrix_csr_deviceILj256ELj64EdliEEvT3_S1_T2_PKT1_PKS2_PKS1_S9_21rocsparse_index_base_22rocsparse_matrix_type_20rocsparse_fill_mode_23rocsparse_storage_mode_P22rocsparse_data_status_
; %bb.0:
	s_bfe_u32 s2, ttmp6, 0x4000c
	s_load_b64 s[12:13], s[0:1], 0x0
	s_add_co_i32 s2, s2, 1
	s_and_b32 s3, ttmp6, 15
	s_mul_i32 s2, ttmp9, s2
	s_getreg_b32 s4, hwreg(HW_REG_IB_STS2, 6, 4)
	s_add_co_i32 s3, s3, s2
	s_cmp_eq_u32 s4, 0
	s_cselect_b32 s2, ttmp9, s3
	s_delay_alu instid0(SALU_CYCLE_1) | instskip(SKIP_1) | instid1(VALU_DEP_1)
	v_lshl_or_b32 v1, s2, 8, v0
	s_mov_b32 s2, exec_lo
	v_lshrrev_b32_e32 v14, 6, v1
	s_wait_kmcnt 0x0
	s_delay_alu instid0(VALU_DEP_1)
	v_cmpx_gt_i32_e64 s12, v14
	s_cbranch_execz .LBB43_31
; %bb.1:
	s_load_b64 s[2:3], s[0:1], 0x18
	v_dual_lshlrev_b32 v1, 3, v14 :: v_dual_mov_b32 v15, 3
	s_wait_kmcnt 0x0
	global_load_b128 v[6:9], v1, s[2:3]
	s_wait_xcnt 0x0
	s_load_b64 s[2:3], s[2:3], 0x0
	s_wait_loadcnt 0x0
	s_wait_kmcnt 0x0
	v_sub_nc_u64_e64 v[2:3], v[8:9], s[2:3]
	v_sub_nc_u64_e64 v[4:5], v[6:7], s[2:3]
	v_cmp_lt_i64_e64 s2, v[8:9], v[6:7]
	s_delay_alu instid0(VALU_DEP_3) | instskip(NEXT) | instid1(VALU_DEP_3)
	v_cmp_gt_i64_e32 vcc_lo, 0, v[2:3]
	v_cmp_lt_i64_e64 s3, -1, v[4:5]
	s_or_b32 s2, vcc_lo, s2
	s_delay_alu instid0(SALU_CYCLE_1) | instskip(SKIP_2) | instid1(SALU_CYCLE_1)
	s_xor_b32 s4, s2, -1
	s_mov_b32 s2, -1
	s_and_b32 s3, s3, s4
	s_and_saveexec_b32 s12, s3
	s_cbranch_execz .LBB43_29
; %bb.2:
	v_dual_mov_b32 v1, 0 :: v_dual_bitop2_b32 v0, 63, v0 bitop3:0x40
	v_mov_b32_e32 v15, 3
	s_mov_b32 s2, 0
	s_mov_b32 s14, exec_lo
	s_delay_alu instid0(VALU_DEP_2) | instskip(NEXT) | instid1(VALU_DEP_1)
	v_add_nc_u64_e32 v[0:1], v[4:5], v[0:1]
	v_cmpx_lt_u64_e64 v[0:1], v[2:3]
	s_cbranch_execz .LBB43_28
; %bb.3:
	s_clause 0x1
	s_load_b256 s[4:11], s[0:1], 0x20
	s_load_b64 s[2:3], s[0:1], 0x10
	v_lshlrev_b64_e32 v[8:9], 2, v[0:1]
	s_wait_kmcnt 0x0
	s_delay_alu instid0(VALU_DEP_1)
	v_add_nc_u64_e32 v[6:7], s[6:7], v[8:9]
	s_cmp_lg_u32 s9, 0
	v_add_nc_u64_e32 v[8:9], s[4:5], v[8:9]
	s_cselect_b32 s6, -1, 0
	s_cmp_lg_u32 s10, 0
	v_lshl_add_u64 v[10:11], v[0:1], 3, s[2:3]
	s_cselect_b32 s4, -1, 0
	v_add_nc_u64_e32 v[6:7], -4, v[6:7]
	s_cmp_lg_u32 s11, 0
	s_mov_b32 s5, 0
	s_cselect_b32 s7, -1, 0
                                        ; implicit-def: $sgpr9
                                        ; implicit-def: $sgpr10
                                        ; implicit-def: $sgpr11
	s_branch .LBB43_10
.LBB43_4:                               ;   in Loop: Header=BB43_10 Depth=1
	s_or_b32 exec_lo, exec_lo, s3
	s_delay_alu instid0(SALU_CYCLE_1)
	s_or_not1_b32 s22, s2, exec_lo
	s_or_not1_b32 s2, s19, exec_lo
.LBB43_5:                               ;   in Loop: Header=BB43_10 Depth=1
	s_or_b32 exec_lo, exec_lo, s20
	s_delay_alu instid0(SALU_CYCLE_1)
	s_or_not1_b32 s3, s22, exec_lo
	s_or_not1_b32 s2, s2, exec_lo
.LBB43_6:                               ;   in Loop: Header=BB43_10 Depth=1
	s_or_b32 exec_lo, exec_lo, s18
	s_delay_alu instid0(SALU_CYCLE_1)
	s_or_not1_b32 s3, s3, exec_lo
	s_or_not1_b32 s2, s2, exec_lo
.LBB43_7:                               ;   in Loop: Header=BB43_10 Depth=1
	s_or_b32 exec_lo, exec_lo, s17
	s_delay_alu instid0(SALU_CYCLE_1)
	s_or_not1_b32 s3, s3, exec_lo
	s_or_not1_b32 s2, s2, exec_lo
.LBB43_8:                               ;   in Loop: Header=BB43_10 Depth=1
	s_or_b32 exec_lo, exec_lo, s16
	s_delay_alu instid0(SALU_CYCLE_1)
	s_and_not1_b32 s11, s11, exec_lo
	s_and_b32 s3, s3, exec_lo
	s_and_not1_b32 s10, s10, exec_lo
	s_and_b32 s2, s2, exec_lo
	s_or_b32 s11, s11, s3
	s_or_b32 s10, s10, s2
.LBB43_9:                               ;   in Loop: Header=BB43_10 Depth=1
	s_or_b32 exec_lo, exec_lo, s15
	s_delay_alu instid0(SALU_CYCLE_1) | instskip(NEXT) | instid1(SALU_CYCLE_1)
	s_and_b32 s2, exec_lo, s10
	s_or_b32 s5, s2, s5
	s_and_not1_b32 s2, s9, exec_lo
	s_and_b32 s3, s11, exec_lo
	s_delay_alu instid0(SALU_CYCLE_1)
	s_or_b32 s9, s2, s3
	s_and_not1_b32 exec_lo, exec_lo, s5
	s_cbranch_execz .LBB43_27
.LBB43_10:                              ; =>This Inner Loop Header: Depth=1
	global_load_b32 v16, v[8:9], off
	v_mov_b32_e32 v15, 4
	s_or_b32 s11, s11, exec_lo
	s_or_b32 s10, s10, exec_lo
	s_wait_loadcnt 0x0
	v_subrev_nc_u32_e32 v17, s8, v16
	s_delay_alu instid0(VALU_DEP_1) | instskip(SKIP_2) | instid1(SALU_CYCLE_1)
	v_cmp_lt_i32_e32 vcc_lo, -1, v17
	v_cmp_gt_i32_e64 s2, s13, v17
	s_and_b32 s2, vcc_lo, s2
	s_and_saveexec_b32 s15, s2
	s_cbranch_execz .LBB43_9
; %bb.11:                               ;   in Loop: Header=BB43_10 Depth=1
	v_cmp_le_i64_e64 s19, v[0:1], v[4:5]
	v_mov_b32_e32 v15, 4
	s_mov_b32 s16, exec_lo
	s_mov_b32 s17, s19
	v_cmpx_gt_i64_e64 v[0:1], v[4:5]
	s_cbranch_execz .LBB43_13
; %bb.12:                               ;   in Loop: Header=BB43_10 Depth=1
	global_load_b64 v[12:13], v[6:7], off
	s_wait_loadcnt 0x0
	v_subrev_nc_u32_e32 v15, s8, v12
	v_cmp_ne_u32_e64 s3, v13, v12
	s_delay_alu instid0(VALU_DEP_2) | instskip(SKIP_3) | instid1(SALU_CYCLE_1)
	v_cmp_lt_i32_e32 vcc_lo, -1, v15
	v_cmp_gt_i32_e64 s2, s13, v15
	v_mov_b32_e32 v15, 5
	s_and_b32 s2, vcc_lo, s2
	s_xor_b32 s2, s2, -1
	s_delay_alu instid0(SALU_CYCLE_1) | instskip(SKIP_2) | instid1(SALU_CYCLE_1)
	s_or_b32 s2, s3, s2
	s_and_not1_b32 s3, s19, exec_lo
	s_and_b32 s2, s2, exec_lo
	s_or_b32 s17, s3, s2
.LBB43_13:                              ;   in Loop: Header=BB43_10 Depth=1
	s_or_b32 exec_lo, exec_lo, s16
	s_mov_b32 s2, -1
	s_mov_b32 s3, -1
	s_and_saveexec_b32 s16, s17
	s_cbranch_execz .LBB43_8
; %bb.14:                               ;   in Loop: Header=BB43_10 Depth=1
	global_load_b64 v[12:13], v[10:11], off
	v_mov_b32_e32 v15, 1
	s_mov_b32 s17, exec_lo
	s_wait_loadcnt 0x0
	v_cmpx_neq_f64_e32 0x7ff00000, v[12:13]
	s_cbranch_execz .LBB43_7
; %bb.15:                               ;   in Loop: Header=BB43_10 Depth=1
	v_mov_b32_e32 v15, 2
	s_mov_b32 s18, exec_lo
	v_cmpx_o_f64_e32 v[12:13], v[12:13]
	s_cbranch_execz .LBB43_6
; %bb.16:                               ;   in Loop: Header=BB43_10 Depth=1
	s_and_b32 vcc_lo, exec_lo, s6
	s_cbranch_vccz .LBB43_19
; %bb.17:                               ;   in Loop: Header=BB43_10 Depth=1
	s_and_b32 vcc_lo, exec_lo, s4
	s_cbranch_vccz .LBB43_20
; %bb.18:                               ;   in Loop: Header=BB43_10 Depth=1
	v_cmp_le_i32_e32 vcc_lo, v14, v17
	s_mov_b32 s3, 7
	s_and_b32 s21, vcc_lo, exec_lo
	s_cbranch_execz .LBB43_21
	s_branch .LBB43_22
.LBB43_19:                              ;   in Loop: Header=BB43_10 Depth=1
	s_mov_b32 s3, 2
	s_mov_b32 s21, -1
	s_branch .LBB43_22
.LBB43_20:                              ;   in Loop: Header=BB43_10 Depth=1
	s_mov_b32 s21, 0
	s_mov_b32 s3, 2
.LBB43_21:                              ;   in Loop: Header=BB43_10 Depth=1
	v_cmp_ge_i32_e32 vcc_lo, v14, v17
	s_and_not1_b32 s20, s21, exec_lo
	s_mov_b32 s3, 7
	s_and_b32 s21, vcc_lo, exec_lo
	s_delay_alu instid0(SALU_CYCLE_1)
	s_or_b32 s21, s20, s21
.LBB43_22:                              ;   in Loop: Header=BB43_10 Depth=1
	v_mov_b32_e32 v15, s3
	s_mov_b32 s22, -1
	s_and_saveexec_b32 s20, s21
	s_cbranch_execz .LBB43_5
; %bb.23:                               ;   in Loop: Header=BB43_10 Depth=1
	v_mov_b32_e32 v15, s3
	s_nor_b32 s2, s7, s19
	s_mov_b32 s19, -1
	s_and_saveexec_b32 s21, s2
	s_cbranch_execz .LBB43_25
; %bb.24:                               ;   in Loop: Header=BB43_10 Depth=1
	global_load_b32 v12, v[8:9], off offset:-4
	v_mov_b32_e32 v15, 6
	s_wait_loadcnt 0x0
	v_subrev_nc_u32_e32 v13, s8, v12
	v_cmp_gt_i32_e64 s3, v16, v12
	s_delay_alu instid0(VALU_DEP_2) | instskip(SKIP_2) | instid1(SALU_CYCLE_1)
	v_cmp_lt_i32_e32 vcc_lo, -1, v13
	v_cmp_gt_i32_e64 s2, s13, v13
	s_and_b32 s2, vcc_lo, s2
	s_xor_b32 s2, s2, -1
	s_delay_alu instid0(SALU_CYCLE_1) | instskip(NEXT) | instid1(SALU_CYCLE_1)
	s_or_b32 s2, s3, s2
	s_or_not1_b32 s22, s2, exec_lo
.LBB43_25:                              ;   in Loop: Header=BB43_10 Depth=1
	s_or_b32 exec_lo, exec_lo, s21
	s_mov_b32 s2, -1
	s_and_saveexec_b32 s3, s22
	s_cbranch_execz .LBB43_4
; %bb.26:                               ;   in Loop: Header=BB43_10 Depth=1
	v_add_nc_u64_e32 v[0:1], 64, v[0:1]
	v_add_nc_u64_e32 v[6:7], 0x100, v[6:7]
	v_add_nc_u64_e32 v[10:11], 0x200, v[10:11]
	v_add_nc_u64_e32 v[8:9], 0x100, v[8:9]
	s_xor_b32 s2, exec_lo, -1
	s_delay_alu instid0(VALU_DEP_4)
	v_cmp_ge_i64_e32 vcc_lo, v[0:1], v[2:3]
	s_or_not1_b32 s19, vcc_lo, exec_lo
	s_branch .LBB43_4
.LBB43_27:
	s_or_b32 exec_lo, exec_lo, s5
	s_delay_alu instid0(SALU_CYCLE_1)
	s_and_b32 s2, s9, exec_lo
.LBB43_28:
	s_or_b32 exec_lo, exec_lo, s14
	s_delay_alu instid0(SALU_CYCLE_1)
	s_or_not1_b32 s2, s2, exec_lo
.LBB43_29:
	s_or_b32 exec_lo, exec_lo, s12
	s_delay_alu instid0(SALU_CYCLE_1)
	s_and_b32 exec_lo, exec_lo, s2
	s_cbranch_execz .LBB43_31
; %bb.30:
	s_load_b64 s[0:1], s[0:1], 0x40
	v_mov_b32_e32 v0, 0
	s_wait_kmcnt 0x0
	global_store_b32 v0, v15, s[0:1]
.LBB43_31:
	s_endpgm
	.section	.rodata,"a",@progbits
	.p2align	6, 0x0
	.amdhsa_kernel _ZN9rocsparseL23check_matrix_csr_deviceILj256ELj64EdliEEvT3_S1_T2_PKT1_PKS2_PKS1_S9_21rocsparse_index_base_22rocsparse_matrix_type_20rocsparse_fill_mode_23rocsparse_storage_mode_P22rocsparse_data_status_
		.amdhsa_group_segment_fixed_size 0
		.amdhsa_private_segment_fixed_size 0
		.amdhsa_kernarg_size 72
		.amdhsa_user_sgpr_count 2
		.amdhsa_user_sgpr_dispatch_ptr 0
		.amdhsa_user_sgpr_queue_ptr 0
		.amdhsa_user_sgpr_kernarg_segment_ptr 1
		.amdhsa_user_sgpr_dispatch_id 0
		.amdhsa_user_sgpr_kernarg_preload_length 0
		.amdhsa_user_sgpr_kernarg_preload_offset 0
		.amdhsa_user_sgpr_private_segment_size 0
		.amdhsa_wavefront_size32 1
		.amdhsa_uses_dynamic_stack 0
		.amdhsa_enable_private_segment 0
		.amdhsa_system_sgpr_workgroup_id_x 1
		.amdhsa_system_sgpr_workgroup_id_y 0
		.amdhsa_system_sgpr_workgroup_id_z 0
		.amdhsa_system_sgpr_workgroup_info 0
		.amdhsa_system_vgpr_workitem_id 0
		.amdhsa_next_free_vgpr 18
		.amdhsa_next_free_sgpr 23
		.amdhsa_named_barrier_count 0
		.amdhsa_reserve_vcc 1
		.amdhsa_float_round_mode_32 0
		.amdhsa_float_round_mode_16_64 0
		.amdhsa_float_denorm_mode_32 3
		.amdhsa_float_denorm_mode_16_64 3
		.amdhsa_fp16_overflow 0
		.amdhsa_memory_ordered 1
		.amdhsa_forward_progress 1
		.amdhsa_inst_pref_size 9
		.amdhsa_round_robin_scheduling 0
		.amdhsa_exception_fp_ieee_invalid_op 0
		.amdhsa_exception_fp_denorm_src 0
		.amdhsa_exception_fp_ieee_div_zero 0
		.amdhsa_exception_fp_ieee_overflow 0
		.amdhsa_exception_fp_ieee_underflow 0
		.amdhsa_exception_fp_ieee_inexact 0
		.amdhsa_exception_int_div_zero 0
	.end_amdhsa_kernel
	.section	.text._ZN9rocsparseL23check_matrix_csr_deviceILj256ELj64EdliEEvT3_S1_T2_PKT1_PKS2_PKS1_S9_21rocsparse_index_base_22rocsparse_matrix_type_20rocsparse_fill_mode_23rocsparse_storage_mode_P22rocsparse_data_status_,"axG",@progbits,_ZN9rocsparseL23check_matrix_csr_deviceILj256ELj64EdliEEvT3_S1_T2_PKT1_PKS2_PKS1_S9_21rocsparse_index_base_22rocsparse_matrix_type_20rocsparse_fill_mode_23rocsparse_storage_mode_P22rocsparse_data_status_,comdat
.Lfunc_end43:
	.size	_ZN9rocsparseL23check_matrix_csr_deviceILj256ELj64EdliEEvT3_S1_T2_PKT1_PKS2_PKS1_S9_21rocsparse_index_base_22rocsparse_matrix_type_20rocsparse_fill_mode_23rocsparse_storage_mode_P22rocsparse_data_status_, .Lfunc_end43-_ZN9rocsparseL23check_matrix_csr_deviceILj256ELj64EdliEEvT3_S1_T2_PKT1_PKS2_PKS1_S9_21rocsparse_index_base_22rocsparse_matrix_type_20rocsparse_fill_mode_23rocsparse_storage_mode_P22rocsparse_data_status_
                                        ; -- End function
	.set _ZN9rocsparseL23check_matrix_csr_deviceILj256ELj64EdliEEvT3_S1_T2_PKT1_PKS2_PKS1_S9_21rocsparse_index_base_22rocsparse_matrix_type_20rocsparse_fill_mode_23rocsparse_storage_mode_P22rocsparse_data_status_.num_vgpr, 18
	.set _ZN9rocsparseL23check_matrix_csr_deviceILj256ELj64EdliEEvT3_S1_T2_PKT1_PKS2_PKS1_S9_21rocsparse_index_base_22rocsparse_matrix_type_20rocsparse_fill_mode_23rocsparse_storage_mode_P22rocsparse_data_status_.num_agpr, 0
	.set _ZN9rocsparseL23check_matrix_csr_deviceILj256ELj64EdliEEvT3_S1_T2_PKT1_PKS2_PKS1_S9_21rocsparse_index_base_22rocsparse_matrix_type_20rocsparse_fill_mode_23rocsparse_storage_mode_P22rocsparse_data_status_.numbered_sgpr, 23
	.set _ZN9rocsparseL23check_matrix_csr_deviceILj256ELj64EdliEEvT3_S1_T2_PKT1_PKS2_PKS1_S9_21rocsparse_index_base_22rocsparse_matrix_type_20rocsparse_fill_mode_23rocsparse_storage_mode_P22rocsparse_data_status_.num_named_barrier, 0
	.set _ZN9rocsparseL23check_matrix_csr_deviceILj256ELj64EdliEEvT3_S1_T2_PKT1_PKS2_PKS1_S9_21rocsparse_index_base_22rocsparse_matrix_type_20rocsparse_fill_mode_23rocsparse_storage_mode_P22rocsparse_data_status_.private_seg_size, 0
	.set _ZN9rocsparseL23check_matrix_csr_deviceILj256ELj64EdliEEvT3_S1_T2_PKT1_PKS2_PKS1_S9_21rocsparse_index_base_22rocsparse_matrix_type_20rocsparse_fill_mode_23rocsparse_storage_mode_P22rocsparse_data_status_.uses_vcc, 1
	.set _ZN9rocsparseL23check_matrix_csr_deviceILj256ELj64EdliEEvT3_S1_T2_PKT1_PKS2_PKS1_S9_21rocsparse_index_base_22rocsparse_matrix_type_20rocsparse_fill_mode_23rocsparse_storage_mode_P22rocsparse_data_status_.uses_flat_scratch, 0
	.set _ZN9rocsparseL23check_matrix_csr_deviceILj256ELj64EdliEEvT3_S1_T2_PKT1_PKS2_PKS1_S9_21rocsparse_index_base_22rocsparse_matrix_type_20rocsparse_fill_mode_23rocsparse_storage_mode_P22rocsparse_data_status_.has_dyn_sized_stack, 0
	.set _ZN9rocsparseL23check_matrix_csr_deviceILj256ELj64EdliEEvT3_S1_T2_PKT1_PKS2_PKS1_S9_21rocsparse_index_base_22rocsparse_matrix_type_20rocsparse_fill_mode_23rocsparse_storage_mode_P22rocsparse_data_status_.has_recursion, 0
	.set _ZN9rocsparseL23check_matrix_csr_deviceILj256ELj64EdliEEvT3_S1_T2_PKT1_PKS2_PKS1_S9_21rocsparse_index_base_22rocsparse_matrix_type_20rocsparse_fill_mode_23rocsparse_storage_mode_P22rocsparse_data_status_.has_indirect_call, 0
	.section	.AMDGPU.csdata,"",@progbits
; Kernel info:
; codeLenInByte = 1032
; TotalNumSgprs: 25
; NumVgprs: 18
; ScratchSize: 0
; MemoryBound: 0
; FloatMode: 240
; IeeeMode: 1
; LDSByteSize: 0 bytes/workgroup (compile time only)
; SGPRBlocks: 0
; VGPRBlocks: 1
; NumSGPRsForWavesPerEU: 25
; NumVGPRsForWavesPerEU: 18
; NamedBarCnt: 0
; Occupancy: 16
; WaveLimiterHint : 0
; COMPUTE_PGM_RSRC2:SCRATCH_EN: 0
; COMPUTE_PGM_RSRC2:USER_SGPR: 2
; COMPUTE_PGM_RSRC2:TRAP_HANDLER: 0
; COMPUTE_PGM_RSRC2:TGID_X_EN: 1
; COMPUTE_PGM_RSRC2:TGID_Y_EN: 0
; COMPUTE_PGM_RSRC2:TGID_Z_EN: 0
; COMPUTE_PGM_RSRC2:TIDIG_COMP_CNT: 0
	.section	.text._ZN9rocsparseL23check_matrix_csr_deviceILj256ELj128EdliEEvT3_S1_T2_PKT1_PKS2_PKS1_S9_21rocsparse_index_base_22rocsparse_matrix_type_20rocsparse_fill_mode_23rocsparse_storage_mode_P22rocsparse_data_status_,"axG",@progbits,_ZN9rocsparseL23check_matrix_csr_deviceILj256ELj128EdliEEvT3_S1_T2_PKT1_PKS2_PKS1_S9_21rocsparse_index_base_22rocsparse_matrix_type_20rocsparse_fill_mode_23rocsparse_storage_mode_P22rocsparse_data_status_,comdat
	.globl	_ZN9rocsparseL23check_matrix_csr_deviceILj256ELj128EdliEEvT3_S1_T2_PKT1_PKS2_PKS1_S9_21rocsparse_index_base_22rocsparse_matrix_type_20rocsparse_fill_mode_23rocsparse_storage_mode_P22rocsparse_data_status_ ; -- Begin function _ZN9rocsparseL23check_matrix_csr_deviceILj256ELj128EdliEEvT3_S1_T2_PKT1_PKS2_PKS1_S9_21rocsparse_index_base_22rocsparse_matrix_type_20rocsparse_fill_mode_23rocsparse_storage_mode_P22rocsparse_data_status_
	.p2align	8
	.type	_ZN9rocsparseL23check_matrix_csr_deviceILj256ELj128EdliEEvT3_S1_T2_PKT1_PKS2_PKS1_S9_21rocsparse_index_base_22rocsparse_matrix_type_20rocsparse_fill_mode_23rocsparse_storage_mode_P22rocsparse_data_status_,@function
_ZN9rocsparseL23check_matrix_csr_deviceILj256ELj128EdliEEvT3_S1_T2_PKT1_PKS2_PKS1_S9_21rocsparse_index_base_22rocsparse_matrix_type_20rocsparse_fill_mode_23rocsparse_storage_mode_P22rocsparse_data_status_: ; @_ZN9rocsparseL23check_matrix_csr_deviceILj256ELj128EdliEEvT3_S1_T2_PKT1_PKS2_PKS1_S9_21rocsparse_index_base_22rocsparse_matrix_type_20rocsparse_fill_mode_23rocsparse_storage_mode_P22rocsparse_data_status_
; %bb.0:
	s_bfe_u32 s2, ttmp6, 0x4000c
	s_load_b64 s[12:13], s[0:1], 0x0
	s_add_co_i32 s2, s2, 1
	s_and_b32 s3, ttmp6, 15
	s_mul_i32 s2, ttmp9, s2
	s_getreg_b32 s4, hwreg(HW_REG_IB_STS2, 6, 4)
	s_add_co_i32 s3, s3, s2
	s_cmp_eq_u32 s4, 0
	s_cselect_b32 s2, ttmp9, s3
	s_delay_alu instid0(SALU_CYCLE_1) | instskip(SKIP_1) | instid1(VALU_DEP_1)
	v_lshl_or_b32 v1, s2, 8, v0
	s_mov_b32 s2, exec_lo
	v_lshrrev_b32_e32 v14, 7, v1
	s_wait_kmcnt 0x0
	s_delay_alu instid0(VALU_DEP_1)
	v_cmpx_gt_i32_e64 s12, v14
	s_cbranch_execz .LBB44_31
; %bb.1:
	s_load_b64 s[2:3], s[0:1], 0x18
	v_dual_lshlrev_b32 v1, 3, v14 :: v_dual_mov_b32 v15, 3
	s_wait_kmcnt 0x0
	global_load_b128 v[6:9], v1, s[2:3]
	s_wait_xcnt 0x0
	s_load_b64 s[2:3], s[2:3], 0x0
	s_wait_loadcnt 0x0
	s_wait_kmcnt 0x0
	v_sub_nc_u64_e64 v[2:3], v[8:9], s[2:3]
	v_sub_nc_u64_e64 v[4:5], v[6:7], s[2:3]
	v_cmp_lt_i64_e64 s2, v[8:9], v[6:7]
	s_delay_alu instid0(VALU_DEP_3) | instskip(NEXT) | instid1(VALU_DEP_3)
	v_cmp_gt_i64_e32 vcc_lo, 0, v[2:3]
	v_cmp_lt_i64_e64 s3, -1, v[4:5]
	s_or_b32 s2, vcc_lo, s2
	s_delay_alu instid0(SALU_CYCLE_1) | instskip(SKIP_2) | instid1(SALU_CYCLE_1)
	s_xor_b32 s4, s2, -1
	s_mov_b32 s2, -1
	s_and_b32 s3, s3, s4
	s_and_saveexec_b32 s12, s3
	s_cbranch_execz .LBB44_29
; %bb.2:
	v_and_b32_e32 v0, 0x7f, v0
	v_dual_mov_b32 v1, 0 :: v_dual_mov_b32 v15, 3
	s_mov_b32 s2, 0
	s_mov_b32 s14, exec_lo
	s_delay_alu instid0(VALU_DEP_1) | instskip(NEXT) | instid1(VALU_DEP_1)
	v_add_nc_u64_e32 v[0:1], v[4:5], v[0:1]
	v_cmpx_lt_u64_e64 v[0:1], v[2:3]
	s_cbranch_execz .LBB44_28
; %bb.3:
	s_clause 0x1
	s_load_b256 s[4:11], s[0:1], 0x20
	s_load_b64 s[2:3], s[0:1], 0x10
	v_lshlrev_b64_e32 v[8:9], 2, v[0:1]
	s_wait_kmcnt 0x0
	s_delay_alu instid0(VALU_DEP_1)
	v_add_nc_u64_e32 v[6:7], s[6:7], v[8:9]
	s_cmp_lg_u32 s9, 0
	v_add_nc_u64_e32 v[8:9], s[4:5], v[8:9]
	s_cselect_b32 s6, -1, 0
	s_cmp_lg_u32 s10, 0
	v_lshl_add_u64 v[10:11], v[0:1], 3, s[2:3]
	s_cselect_b32 s4, -1, 0
	v_add_nc_u64_e32 v[6:7], -4, v[6:7]
	s_cmp_lg_u32 s11, 0
	s_mov_b32 s5, 0
	s_cselect_b32 s7, -1, 0
                                        ; implicit-def: $sgpr9
                                        ; implicit-def: $sgpr10
                                        ; implicit-def: $sgpr11
	s_branch .LBB44_10
.LBB44_4:                               ;   in Loop: Header=BB44_10 Depth=1
	s_or_b32 exec_lo, exec_lo, s3
	s_delay_alu instid0(SALU_CYCLE_1)
	s_or_not1_b32 s22, s2, exec_lo
	s_or_not1_b32 s2, s19, exec_lo
.LBB44_5:                               ;   in Loop: Header=BB44_10 Depth=1
	s_or_b32 exec_lo, exec_lo, s20
	s_delay_alu instid0(SALU_CYCLE_1)
	s_or_not1_b32 s3, s22, exec_lo
	s_or_not1_b32 s2, s2, exec_lo
.LBB44_6:                               ;   in Loop: Header=BB44_10 Depth=1
	s_or_b32 exec_lo, exec_lo, s18
	s_delay_alu instid0(SALU_CYCLE_1)
	s_or_not1_b32 s3, s3, exec_lo
	s_or_not1_b32 s2, s2, exec_lo
.LBB44_7:                               ;   in Loop: Header=BB44_10 Depth=1
	s_or_b32 exec_lo, exec_lo, s17
	s_delay_alu instid0(SALU_CYCLE_1)
	s_or_not1_b32 s3, s3, exec_lo
	s_or_not1_b32 s2, s2, exec_lo
.LBB44_8:                               ;   in Loop: Header=BB44_10 Depth=1
	s_or_b32 exec_lo, exec_lo, s16
	s_delay_alu instid0(SALU_CYCLE_1)
	s_and_not1_b32 s11, s11, exec_lo
	s_and_b32 s3, s3, exec_lo
	s_and_not1_b32 s10, s10, exec_lo
	s_and_b32 s2, s2, exec_lo
	s_or_b32 s11, s11, s3
	s_or_b32 s10, s10, s2
.LBB44_9:                               ;   in Loop: Header=BB44_10 Depth=1
	s_or_b32 exec_lo, exec_lo, s15
	s_delay_alu instid0(SALU_CYCLE_1) | instskip(NEXT) | instid1(SALU_CYCLE_1)
	s_and_b32 s2, exec_lo, s10
	s_or_b32 s5, s2, s5
	s_and_not1_b32 s2, s9, exec_lo
	s_and_b32 s3, s11, exec_lo
	s_delay_alu instid0(SALU_CYCLE_1)
	s_or_b32 s9, s2, s3
	s_and_not1_b32 exec_lo, exec_lo, s5
	s_cbranch_execz .LBB44_27
.LBB44_10:                              ; =>This Inner Loop Header: Depth=1
	global_load_b32 v16, v[8:9], off
	v_mov_b32_e32 v15, 4
	s_or_b32 s11, s11, exec_lo
	s_or_b32 s10, s10, exec_lo
	s_wait_loadcnt 0x0
	v_subrev_nc_u32_e32 v17, s8, v16
	s_delay_alu instid0(VALU_DEP_1) | instskip(SKIP_2) | instid1(SALU_CYCLE_1)
	v_cmp_lt_i32_e32 vcc_lo, -1, v17
	v_cmp_gt_i32_e64 s2, s13, v17
	s_and_b32 s2, vcc_lo, s2
	s_and_saveexec_b32 s15, s2
	s_cbranch_execz .LBB44_9
; %bb.11:                               ;   in Loop: Header=BB44_10 Depth=1
	v_cmp_le_i64_e64 s19, v[0:1], v[4:5]
	v_mov_b32_e32 v15, 4
	s_mov_b32 s16, exec_lo
	s_mov_b32 s17, s19
	v_cmpx_gt_i64_e64 v[0:1], v[4:5]
	s_cbranch_execz .LBB44_13
; %bb.12:                               ;   in Loop: Header=BB44_10 Depth=1
	global_load_b64 v[12:13], v[6:7], off
	s_wait_loadcnt 0x0
	v_subrev_nc_u32_e32 v15, s8, v12
	v_cmp_ne_u32_e64 s3, v13, v12
	s_delay_alu instid0(VALU_DEP_2) | instskip(SKIP_3) | instid1(SALU_CYCLE_1)
	v_cmp_lt_i32_e32 vcc_lo, -1, v15
	v_cmp_gt_i32_e64 s2, s13, v15
	v_mov_b32_e32 v15, 5
	s_and_b32 s2, vcc_lo, s2
	s_xor_b32 s2, s2, -1
	s_delay_alu instid0(SALU_CYCLE_1) | instskip(SKIP_2) | instid1(SALU_CYCLE_1)
	s_or_b32 s2, s3, s2
	s_and_not1_b32 s3, s19, exec_lo
	s_and_b32 s2, s2, exec_lo
	s_or_b32 s17, s3, s2
.LBB44_13:                              ;   in Loop: Header=BB44_10 Depth=1
	s_or_b32 exec_lo, exec_lo, s16
	s_mov_b32 s2, -1
	s_mov_b32 s3, -1
	s_and_saveexec_b32 s16, s17
	s_cbranch_execz .LBB44_8
; %bb.14:                               ;   in Loop: Header=BB44_10 Depth=1
	global_load_b64 v[12:13], v[10:11], off
	v_mov_b32_e32 v15, 1
	s_mov_b32 s17, exec_lo
	s_wait_loadcnt 0x0
	v_cmpx_neq_f64_e32 0x7ff00000, v[12:13]
	s_cbranch_execz .LBB44_7
; %bb.15:                               ;   in Loop: Header=BB44_10 Depth=1
	v_mov_b32_e32 v15, 2
	s_mov_b32 s18, exec_lo
	v_cmpx_o_f64_e32 v[12:13], v[12:13]
	s_cbranch_execz .LBB44_6
; %bb.16:                               ;   in Loop: Header=BB44_10 Depth=1
	s_and_b32 vcc_lo, exec_lo, s6
	s_cbranch_vccz .LBB44_19
; %bb.17:                               ;   in Loop: Header=BB44_10 Depth=1
	s_and_b32 vcc_lo, exec_lo, s4
	s_cbranch_vccz .LBB44_20
; %bb.18:                               ;   in Loop: Header=BB44_10 Depth=1
	v_cmp_le_i32_e32 vcc_lo, v14, v17
	s_mov_b32 s3, 7
	s_and_b32 s21, vcc_lo, exec_lo
	s_cbranch_execz .LBB44_21
	s_branch .LBB44_22
.LBB44_19:                              ;   in Loop: Header=BB44_10 Depth=1
	s_mov_b32 s3, 2
	s_mov_b32 s21, -1
	s_branch .LBB44_22
.LBB44_20:                              ;   in Loop: Header=BB44_10 Depth=1
	s_mov_b32 s21, 0
	s_mov_b32 s3, 2
.LBB44_21:                              ;   in Loop: Header=BB44_10 Depth=1
	v_cmp_ge_i32_e32 vcc_lo, v14, v17
	s_and_not1_b32 s20, s21, exec_lo
	s_mov_b32 s3, 7
	s_and_b32 s21, vcc_lo, exec_lo
	s_delay_alu instid0(SALU_CYCLE_1)
	s_or_b32 s21, s20, s21
.LBB44_22:                              ;   in Loop: Header=BB44_10 Depth=1
	v_mov_b32_e32 v15, s3
	s_mov_b32 s22, -1
	s_and_saveexec_b32 s20, s21
	s_cbranch_execz .LBB44_5
; %bb.23:                               ;   in Loop: Header=BB44_10 Depth=1
	v_mov_b32_e32 v15, s3
	s_nor_b32 s2, s7, s19
	s_mov_b32 s19, -1
	s_and_saveexec_b32 s21, s2
	s_cbranch_execz .LBB44_25
; %bb.24:                               ;   in Loop: Header=BB44_10 Depth=1
	global_load_b32 v12, v[8:9], off offset:-4
	v_mov_b32_e32 v15, 6
	s_wait_loadcnt 0x0
	v_subrev_nc_u32_e32 v13, s8, v12
	v_cmp_gt_i32_e64 s3, v16, v12
	s_delay_alu instid0(VALU_DEP_2) | instskip(SKIP_2) | instid1(SALU_CYCLE_1)
	v_cmp_lt_i32_e32 vcc_lo, -1, v13
	v_cmp_gt_i32_e64 s2, s13, v13
	s_and_b32 s2, vcc_lo, s2
	s_xor_b32 s2, s2, -1
	s_delay_alu instid0(SALU_CYCLE_1) | instskip(NEXT) | instid1(SALU_CYCLE_1)
	s_or_b32 s2, s3, s2
	s_or_not1_b32 s22, s2, exec_lo
.LBB44_25:                              ;   in Loop: Header=BB44_10 Depth=1
	s_or_b32 exec_lo, exec_lo, s21
	s_mov_b32 s2, -1
	s_and_saveexec_b32 s3, s22
	s_cbranch_execz .LBB44_4
; %bb.26:                               ;   in Loop: Header=BB44_10 Depth=1
	v_add_nc_u64_e32 v[0:1], 0x80, v[0:1]
	v_add_nc_u64_e32 v[6:7], 0x200, v[6:7]
	;; [unrolled: 1-line block ×4, first 2 shown]
	s_xor_b32 s2, exec_lo, -1
	s_delay_alu instid0(VALU_DEP_4)
	v_cmp_ge_i64_e32 vcc_lo, v[0:1], v[2:3]
	s_or_not1_b32 s19, vcc_lo, exec_lo
	s_branch .LBB44_4
.LBB44_27:
	s_or_b32 exec_lo, exec_lo, s5
	s_delay_alu instid0(SALU_CYCLE_1)
	s_and_b32 s2, s9, exec_lo
.LBB44_28:
	s_or_b32 exec_lo, exec_lo, s14
	s_delay_alu instid0(SALU_CYCLE_1)
	s_or_not1_b32 s2, s2, exec_lo
.LBB44_29:
	s_or_b32 exec_lo, exec_lo, s12
	s_delay_alu instid0(SALU_CYCLE_1)
	s_and_b32 exec_lo, exec_lo, s2
	s_cbranch_execz .LBB44_31
; %bb.30:
	s_load_b64 s[0:1], s[0:1], 0x40
	v_mov_b32_e32 v0, 0
	s_wait_kmcnt 0x0
	global_store_b32 v0, v15, s[0:1]
.LBB44_31:
	s_endpgm
	.section	.rodata,"a",@progbits
	.p2align	6, 0x0
	.amdhsa_kernel _ZN9rocsparseL23check_matrix_csr_deviceILj256ELj128EdliEEvT3_S1_T2_PKT1_PKS2_PKS1_S9_21rocsparse_index_base_22rocsparse_matrix_type_20rocsparse_fill_mode_23rocsparse_storage_mode_P22rocsparse_data_status_
		.amdhsa_group_segment_fixed_size 0
		.amdhsa_private_segment_fixed_size 0
		.amdhsa_kernarg_size 72
		.amdhsa_user_sgpr_count 2
		.amdhsa_user_sgpr_dispatch_ptr 0
		.amdhsa_user_sgpr_queue_ptr 0
		.amdhsa_user_sgpr_kernarg_segment_ptr 1
		.amdhsa_user_sgpr_dispatch_id 0
		.amdhsa_user_sgpr_kernarg_preload_length 0
		.amdhsa_user_sgpr_kernarg_preload_offset 0
		.amdhsa_user_sgpr_private_segment_size 0
		.amdhsa_wavefront_size32 1
		.amdhsa_uses_dynamic_stack 0
		.amdhsa_enable_private_segment 0
		.amdhsa_system_sgpr_workgroup_id_x 1
		.amdhsa_system_sgpr_workgroup_id_y 0
		.amdhsa_system_sgpr_workgroup_id_z 0
		.amdhsa_system_sgpr_workgroup_info 0
		.amdhsa_system_vgpr_workitem_id 0
		.amdhsa_next_free_vgpr 18
		.amdhsa_next_free_sgpr 23
		.amdhsa_named_barrier_count 0
		.amdhsa_reserve_vcc 1
		.amdhsa_float_round_mode_32 0
		.amdhsa_float_round_mode_16_64 0
		.amdhsa_float_denorm_mode_32 3
		.amdhsa_float_denorm_mode_16_64 3
		.amdhsa_fp16_overflow 0
		.amdhsa_memory_ordered 1
		.amdhsa_forward_progress 1
		.amdhsa_inst_pref_size 9
		.amdhsa_round_robin_scheduling 0
		.amdhsa_exception_fp_ieee_invalid_op 0
		.amdhsa_exception_fp_denorm_src 0
		.amdhsa_exception_fp_ieee_div_zero 0
		.amdhsa_exception_fp_ieee_overflow 0
		.amdhsa_exception_fp_ieee_underflow 0
		.amdhsa_exception_fp_ieee_inexact 0
		.amdhsa_exception_int_div_zero 0
	.end_amdhsa_kernel
	.section	.text._ZN9rocsparseL23check_matrix_csr_deviceILj256ELj128EdliEEvT3_S1_T2_PKT1_PKS2_PKS1_S9_21rocsparse_index_base_22rocsparse_matrix_type_20rocsparse_fill_mode_23rocsparse_storage_mode_P22rocsparse_data_status_,"axG",@progbits,_ZN9rocsparseL23check_matrix_csr_deviceILj256ELj128EdliEEvT3_S1_T2_PKT1_PKS2_PKS1_S9_21rocsparse_index_base_22rocsparse_matrix_type_20rocsparse_fill_mode_23rocsparse_storage_mode_P22rocsparse_data_status_,comdat
.Lfunc_end44:
	.size	_ZN9rocsparseL23check_matrix_csr_deviceILj256ELj128EdliEEvT3_S1_T2_PKT1_PKS2_PKS1_S9_21rocsparse_index_base_22rocsparse_matrix_type_20rocsparse_fill_mode_23rocsparse_storage_mode_P22rocsparse_data_status_, .Lfunc_end44-_ZN9rocsparseL23check_matrix_csr_deviceILj256ELj128EdliEEvT3_S1_T2_PKT1_PKS2_PKS1_S9_21rocsparse_index_base_22rocsparse_matrix_type_20rocsparse_fill_mode_23rocsparse_storage_mode_P22rocsparse_data_status_
                                        ; -- End function
	.set _ZN9rocsparseL23check_matrix_csr_deviceILj256ELj128EdliEEvT3_S1_T2_PKT1_PKS2_PKS1_S9_21rocsparse_index_base_22rocsparse_matrix_type_20rocsparse_fill_mode_23rocsparse_storage_mode_P22rocsparse_data_status_.num_vgpr, 18
	.set _ZN9rocsparseL23check_matrix_csr_deviceILj256ELj128EdliEEvT3_S1_T2_PKT1_PKS2_PKS1_S9_21rocsparse_index_base_22rocsparse_matrix_type_20rocsparse_fill_mode_23rocsparse_storage_mode_P22rocsparse_data_status_.num_agpr, 0
	.set _ZN9rocsparseL23check_matrix_csr_deviceILj256ELj128EdliEEvT3_S1_T2_PKT1_PKS2_PKS1_S9_21rocsparse_index_base_22rocsparse_matrix_type_20rocsparse_fill_mode_23rocsparse_storage_mode_P22rocsparse_data_status_.numbered_sgpr, 23
	.set _ZN9rocsparseL23check_matrix_csr_deviceILj256ELj128EdliEEvT3_S1_T2_PKT1_PKS2_PKS1_S9_21rocsparse_index_base_22rocsparse_matrix_type_20rocsparse_fill_mode_23rocsparse_storage_mode_P22rocsparse_data_status_.num_named_barrier, 0
	.set _ZN9rocsparseL23check_matrix_csr_deviceILj256ELj128EdliEEvT3_S1_T2_PKT1_PKS2_PKS1_S9_21rocsparse_index_base_22rocsparse_matrix_type_20rocsparse_fill_mode_23rocsparse_storage_mode_P22rocsparse_data_status_.private_seg_size, 0
	.set _ZN9rocsparseL23check_matrix_csr_deviceILj256ELj128EdliEEvT3_S1_T2_PKT1_PKS2_PKS1_S9_21rocsparse_index_base_22rocsparse_matrix_type_20rocsparse_fill_mode_23rocsparse_storage_mode_P22rocsparse_data_status_.uses_vcc, 1
	.set _ZN9rocsparseL23check_matrix_csr_deviceILj256ELj128EdliEEvT3_S1_T2_PKT1_PKS2_PKS1_S9_21rocsparse_index_base_22rocsparse_matrix_type_20rocsparse_fill_mode_23rocsparse_storage_mode_P22rocsparse_data_status_.uses_flat_scratch, 0
	.set _ZN9rocsparseL23check_matrix_csr_deviceILj256ELj128EdliEEvT3_S1_T2_PKT1_PKS2_PKS1_S9_21rocsparse_index_base_22rocsparse_matrix_type_20rocsparse_fill_mode_23rocsparse_storage_mode_P22rocsparse_data_status_.has_dyn_sized_stack, 0
	.set _ZN9rocsparseL23check_matrix_csr_deviceILj256ELj128EdliEEvT3_S1_T2_PKT1_PKS2_PKS1_S9_21rocsparse_index_base_22rocsparse_matrix_type_20rocsparse_fill_mode_23rocsparse_storage_mode_P22rocsparse_data_status_.has_recursion, 0
	.set _ZN9rocsparseL23check_matrix_csr_deviceILj256ELj128EdliEEvT3_S1_T2_PKT1_PKS2_PKS1_S9_21rocsparse_index_base_22rocsparse_matrix_type_20rocsparse_fill_mode_23rocsparse_storage_mode_P22rocsparse_data_status_.has_indirect_call, 0
	.section	.AMDGPU.csdata,"",@progbits
; Kernel info:
; codeLenInByte = 1040
; TotalNumSgprs: 25
; NumVgprs: 18
; ScratchSize: 0
; MemoryBound: 0
; FloatMode: 240
; IeeeMode: 1
; LDSByteSize: 0 bytes/workgroup (compile time only)
; SGPRBlocks: 0
; VGPRBlocks: 1
; NumSGPRsForWavesPerEU: 25
; NumVGPRsForWavesPerEU: 18
; NamedBarCnt: 0
; Occupancy: 16
; WaveLimiterHint : 0
; COMPUTE_PGM_RSRC2:SCRATCH_EN: 0
; COMPUTE_PGM_RSRC2:USER_SGPR: 2
; COMPUTE_PGM_RSRC2:TRAP_HANDLER: 0
; COMPUTE_PGM_RSRC2:TGID_X_EN: 1
; COMPUTE_PGM_RSRC2:TGID_Y_EN: 0
; COMPUTE_PGM_RSRC2:TGID_Z_EN: 0
; COMPUTE_PGM_RSRC2:TIDIG_COMP_CNT: 0
	.section	.text._ZN9rocsparseL23check_matrix_csr_deviceILj256ELj256EdliEEvT3_S1_T2_PKT1_PKS2_PKS1_S9_21rocsparse_index_base_22rocsparse_matrix_type_20rocsparse_fill_mode_23rocsparse_storage_mode_P22rocsparse_data_status_,"axG",@progbits,_ZN9rocsparseL23check_matrix_csr_deviceILj256ELj256EdliEEvT3_S1_T2_PKT1_PKS2_PKS1_S9_21rocsparse_index_base_22rocsparse_matrix_type_20rocsparse_fill_mode_23rocsparse_storage_mode_P22rocsparse_data_status_,comdat
	.globl	_ZN9rocsparseL23check_matrix_csr_deviceILj256ELj256EdliEEvT3_S1_T2_PKT1_PKS2_PKS1_S9_21rocsparse_index_base_22rocsparse_matrix_type_20rocsparse_fill_mode_23rocsparse_storage_mode_P22rocsparse_data_status_ ; -- Begin function _ZN9rocsparseL23check_matrix_csr_deviceILj256ELj256EdliEEvT3_S1_T2_PKT1_PKS2_PKS1_S9_21rocsparse_index_base_22rocsparse_matrix_type_20rocsparse_fill_mode_23rocsparse_storage_mode_P22rocsparse_data_status_
	.p2align	8
	.type	_ZN9rocsparseL23check_matrix_csr_deviceILj256ELj256EdliEEvT3_S1_T2_PKT1_PKS2_PKS1_S9_21rocsparse_index_base_22rocsparse_matrix_type_20rocsparse_fill_mode_23rocsparse_storage_mode_P22rocsparse_data_status_,@function
_ZN9rocsparseL23check_matrix_csr_deviceILj256ELj256EdliEEvT3_S1_T2_PKT1_PKS2_PKS1_S9_21rocsparse_index_base_22rocsparse_matrix_type_20rocsparse_fill_mode_23rocsparse_storage_mode_P22rocsparse_data_status_: ; @_ZN9rocsparseL23check_matrix_csr_deviceILj256ELj256EdliEEvT3_S1_T2_PKT1_PKS2_PKS1_S9_21rocsparse_index_base_22rocsparse_matrix_type_20rocsparse_fill_mode_23rocsparse_storage_mode_P22rocsparse_data_status_
; %bb.0:
	s_load_b64 s[12:13], s[0:1], 0x0
	s_bfe_u32 s2, ttmp6, 0x4000c
	s_and_b32 s3, ttmp6, 15
	s_add_co_i32 s2, s2, 1
	s_getreg_b32 s4, hwreg(HW_REG_IB_STS2, 6, 4)
	s_mul_i32 s2, ttmp9, s2
	s_delay_alu instid0(SALU_CYCLE_1) | instskip(SKIP_2) | instid1(SALU_CYCLE_1)
	s_add_co_i32 s3, s3, s2
	s_cmp_eq_u32 s4, 0
	s_cselect_b32 s2, ttmp9, s3
	s_and_b32 s14, s2, 0xffffff
	s_wait_kmcnt 0x0
	s_cmp_lt_i32 s14, s12
	s_cselect_b32 s2, -1, 0
	s_delay_alu instid0(SALU_CYCLE_1)
	s_and_saveexec_b32 s3, s2
	s_cbranch_execz .LBB45_31
; %bb.1:
	s_load_b64 s[2:3], s[0:1], 0x18
	v_lshlrev_b32_e64 v1, 3, s14
	v_mov_b32_e32 v14, 3
	s_wait_kmcnt 0x0
	global_load_b128 v[6:9], v1, s[2:3]
	s_wait_xcnt 0x0
	s_load_b64 s[2:3], s[2:3], 0x0
	s_wait_loadcnt 0x0
	s_wait_kmcnt 0x0
	v_sub_nc_u64_e64 v[2:3], v[8:9], s[2:3]
	v_sub_nc_u64_e64 v[4:5], v[6:7], s[2:3]
	v_cmp_lt_i64_e64 s2, v[8:9], v[6:7]
	s_delay_alu instid0(VALU_DEP_3) | instskip(NEXT) | instid1(VALU_DEP_3)
	v_cmp_gt_i64_e32 vcc_lo, 0, v[2:3]
	v_cmp_lt_i64_e64 s3, -1, v[4:5]
	s_or_b32 s2, vcc_lo, s2
	s_delay_alu instid0(SALU_CYCLE_1) | instskip(SKIP_2) | instid1(SALU_CYCLE_1)
	s_xor_b32 s4, s2, -1
	s_mov_b32 s2, -1
	s_and_b32 s3, s3, s4
	s_and_saveexec_b32 s12, s3
	s_cbranch_execz .LBB45_29
; %bb.2:
	v_dual_mov_b32 v1, 0 :: v_dual_mov_b32 v14, 3
	s_mov_b32 s2, 0
	s_mov_b32 s15, exec_lo
	s_delay_alu instid0(VALU_DEP_1) | instskip(NEXT) | instid1(VALU_DEP_1)
	v_add_nc_u64_e32 v[0:1], v[4:5], v[0:1]
	v_cmpx_lt_u64_e64 v[0:1], v[2:3]
	s_cbranch_execz .LBB45_28
; %bb.3:
	s_clause 0x1
	s_load_b256 s[4:11], s[0:1], 0x20
	s_load_b64 s[2:3], s[0:1], 0x10
	v_lshlrev_b64_e32 v[8:9], 2, v[0:1]
	s_wait_kmcnt 0x0
	s_delay_alu instid0(VALU_DEP_1)
	v_add_nc_u64_e32 v[6:7], s[6:7], v[8:9]
	s_cmp_lg_u32 s9, 0
	v_add_nc_u64_e32 v[8:9], s[4:5], v[8:9]
	s_cselect_b32 s6, -1, 0
	s_cmp_lg_u32 s10, 0
	v_lshl_add_u64 v[10:11], v[0:1], 3, s[2:3]
	s_cselect_b32 s4, -1, 0
	v_add_nc_u64_e32 v[6:7], -4, v[6:7]
	s_cmp_lg_u32 s11, 0
	s_mov_b32 s5, 0
	s_cselect_b32 s7, -1, 0
                                        ; implicit-def: $sgpr9
                                        ; implicit-def: $sgpr10
                                        ; implicit-def: $sgpr11
	s_branch .LBB45_10
.LBB45_4:                               ;   in Loop: Header=BB45_10 Depth=1
	s_or_b32 exec_lo, exec_lo, s3
	s_delay_alu instid0(SALU_CYCLE_1)
	s_or_not1_b32 s23, s2, exec_lo
	s_or_not1_b32 s2, s20, exec_lo
.LBB45_5:                               ;   in Loop: Header=BB45_10 Depth=1
	s_or_b32 exec_lo, exec_lo, s21
	s_delay_alu instid0(SALU_CYCLE_1)
	s_or_not1_b32 s3, s23, exec_lo
	s_or_not1_b32 s2, s2, exec_lo
.LBB45_6:                               ;   in Loop: Header=BB45_10 Depth=1
	s_or_b32 exec_lo, exec_lo, s19
	s_delay_alu instid0(SALU_CYCLE_1)
	s_or_not1_b32 s3, s3, exec_lo
	s_or_not1_b32 s2, s2, exec_lo
.LBB45_7:                               ;   in Loop: Header=BB45_10 Depth=1
	s_or_b32 exec_lo, exec_lo, s18
	s_delay_alu instid0(SALU_CYCLE_1)
	s_or_not1_b32 s3, s3, exec_lo
	s_or_not1_b32 s2, s2, exec_lo
.LBB45_8:                               ;   in Loop: Header=BB45_10 Depth=1
	s_or_b32 exec_lo, exec_lo, s17
	s_delay_alu instid0(SALU_CYCLE_1)
	s_and_not1_b32 s11, s11, exec_lo
	s_and_b32 s3, s3, exec_lo
	s_and_not1_b32 s10, s10, exec_lo
	s_and_b32 s2, s2, exec_lo
	s_or_b32 s11, s11, s3
	s_or_b32 s10, s10, s2
.LBB45_9:                               ;   in Loop: Header=BB45_10 Depth=1
	s_or_b32 exec_lo, exec_lo, s16
	s_delay_alu instid0(SALU_CYCLE_1) | instskip(NEXT) | instid1(SALU_CYCLE_1)
	s_and_b32 s2, exec_lo, s10
	s_or_b32 s5, s2, s5
	s_and_not1_b32 s2, s9, exec_lo
	s_and_b32 s3, s11, exec_lo
	s_delay_alu instid0(SALU_CYCLE_1)
	s_or_b32 s9, s2, s3
	s_and_not1_b32 exec_lo, exec_lo, s5
	s_cbranch_execz .LBB45_27
.LBB45_10:                              ; =>This Inner Loop Header: Depth=1
	global_load_b32 v15, v[8:9], off
	v_mov_b32_e32 v14, 4
	s_or_b32 s11, s11, exec_lo
	s_or_b32 s10, s10, exec_lo
	s_wait_loadcnt 0x0
	v_subrev_nc_u32_e32 v16, s8, v15
	s_delay_alu instid0(VALU_DEP_1) | instskip(SKIP_2) | instid1(SALU_CYCLE_1)
	v_cmp_lt_i32_e32 vcc_lo, -1, v16
	v_cmp_gt_i32_e64 s2, s13, v16
	s_and_b32 s2, vcc_lo, s2
	s_and_saveexec_b32 s16, s2
	s_cbranch_execz .LBB45_9
; %bb.11:                               ;   in Loop: Header=BB45_10 Depth=1
	v_cmp_le_i64_e64 s20, v[0:1], v[4:5]
	v_mov_b32_e32 v14, 4
	s_mov_b32 s17, exec_lo
	s_mov_b32 s18, s20
	v_cmpx_gt_i64_e64 v[0:1], v[4:5]
	s_cbranch_execz .LBB45_13
; %bb.12:                               ;   in Loop: Header=BB45_10 Depth=1
	global_load_b64 v[12:13], v[6:7], off
	s_wait_loadcnt 0x0
	v_subrev_nc_u32_e32 v14, s8, v12
	v_cmp_ne_u32_e64 s3, v13, v12
	s_delay_alu instid0(VALU_DEP_2) | instskip(SKIP_3) | instid1(SALU_CYCLE_1)
	v_cmp_lt_i32_e32 vcc_lo, -1, v14
	v_cmp_gt_i32_e64 s2, s13, v14
	v_mov_b32_e32 v14, 5
	s_and_b32 s2, vcc_lo, s2
	s_xor_b32 s2, s2, -1
	s_delay_alu instid0(SALU_CYCLE_1) | instskip(SKIP_2) | instid1(SALU_CYCLE_1)
	s_or_b32 s2, s3, s2
	s_and_not1_b32 s3, s20, exec_lo
	s_and_b32 s2, s2, exec_lo
	s_or_b32 s18, s3, s2
.LBB45_13:                              ;   in Loop: Header=BB45_10 Depth=1
	s_or_b32 exec_lo, exec_lo, s17
	s_mov_b32 s2, -1
	s_mov_b32 s3, -1
	s_and_saveexec_b32 s17, s18
	s_cbranch_execz .LBB45_8
; %bb.14:                               ;   in Loop: Header=BB45_10 Depth=1
	global_load_b64 v[12:13], v[10:11], off
	v_mov_b32_e32 v14, 1
	s_mov_b32 s18, exec_lo
	s_wait_loadcnt 0x0
	v_cmpx_neq_f64_e32 0x7ff00000, v[12:13]
	s_cbranch_execz .LBB45_7
; %bb.15:                               ;   in Loop: Header=BB45_10 Depth=1
	v_mov_b32_e32 v14, 2
	s_mov_b32 s19, exec_lo
	v_cmpx_o_f64_e32 v[12:13], v[12:13]
	s_cbranch_execz .LBB45_6
; %bb.16:                               ;   in Loop: Header=BB45_10 Depth=1
	s_and_b32 vcc_lo, exec_lo, s6
	s_cbranch_vccz .LBB45_19
; %bb.17:                               ;   in Loop: Header=BB45_10 Depth=1
	s_and_b32 vcc_lo, exec_lo, s4
	s_cbranch_vccz .LBB45_20
; %bb.18:                               ;   in Loop: Header=BB45_10 Depth=1
	v_cmp_le_i32_e32 vcc_lo, s14, v16
	s_mov_b32 s3, 7
	s_and_b32 s22, vcc_lo, exec_lo
	s_cbranch_execz .LBB45_21
	s_branch .LBB45_22
.LBB45_19:                              ;   in Loop: Header=BB45_10 Depth=1
	s_mov_b32 s3, 2
	s_mov_b32 s22, -1
	s_branch .LBB45_22
.LBB45_20:                              ;   in Loop: Header=BB45_10 Depth=1
	s_mov_b32 s22, 0
	s_mov_b32 s3, 2
.LBB45_21:                              ;   in Loop: Header=BB45_10 Depth=1
	v_cmp_ge_i32_e32 vcc_lo, s14, v16
	s_and_not1_b32 s21, s22, exec_lo
	s_mov_b32 s3, 7
	s_and_b32 s22, vcc_lo, exec_lo
	s_delay_alu instid0(SALU_CYCLE_1)
	s_or_b32 s22, s21, s22
.LBB45_22:                              ;   in Loop: Header=BB45_10 Depth=1
	v_mov_b32_e32 v14, s3
	s_mov_b32 s23, -1
	s_and_saveexec_b32 s21, s22
	s_cbranch_execz .LBB45_5
; %bb.23:                               ;   in Loop: Header=BB45_10 Depth=1
	v_mov_b32_e32 v14, s3
	s_nor_b32 s2, s7, s20
	s_mov_b32 s20, -1
	s_and_saveexec_b32 s22, s2
	s_cbranch_execz .LBB45_25
; %bb.24:                               ;   in Loop: Header=BB45_10 Depth=1
	global_load_b32 v12, v[8:9], off offset:-4
	v_mov_b32_e32 v14, 6
	s_wait_loadcnt 0x0
	v_subrev_nc_u32_e32 v13, s8, v12
	v_cmp_gt_i32_e64 s3, v15, v12
	s_delay_alu instid0(VALU_DEP_2) | instskip(SKIP_2) | instid1(SALU_CYCLE_1)
	v_cmp_lt_i32_e32 vcc_lo, -1, v13
	v_cmp_gt_i32_e64 s2, s13, v13
	s_and_b32 s2, vcc_lo, s2
	s_xor_b32 s2, s2, -1
	s_delay_alu instid0(SALU_CYCLE_1) | instskip(NEXT) | instid1(SALU_CYCLE_1)
	s_or_b32 s2, s3, s2
	s_or_not1_b32 s23, s2, exec_lo
.LBB45_25:                              ;   in Loop: Header=BB45_10 Depth=1
	s_or_b32 exec_lo, exec_lo, s22
	s_mov_b32 s2, -1
	s_and_saveexec_b32 s3, s23
	s_cbranch_execz .LBB45_4
; %bb.26:                               ;   in Loop: Header=BB45_10 Depth=1
	v_add_nc_u64_e32 v[0:1], 0x100, v[0:1]
	v_add_nc_u64_e32 v[6:7], 0x400, v[6:7]
	;; [unrolled: 1-line block ×4, first 2 shown]
	s_xor_b32 s2, exec_lo, -1
	s_delay_alu instid0(VALU_DEP_4)
	v_cmp_ge_i64_e32 vcc_lo, v[0:1], v[2:3]
	s_or_not1_b32 s20, vcc_lo, exec_lo
	s_branch .LBB45_4
.LBB45_27:
	s_or_b32 exec_lo, exec_lo, s5
	s_delay_alu instid0(SALU_CYCLE_1)
	s_and_b32 s2, s9, exec_lo
.LBB45_28:
	s_or_b32 exec_lo, exec_lo, s15
	s_delay_alu instid0(SALU_CYCLE_1)
	s_or_not1_b32 s2, s2, exec_lo
.LBB45_29:
	s_or_b32 exec_lo, exec_lo, s12
	s_delay_alu instid0(SALU_CYCLE_1)
	s_and_b32 exec_lo, exec_lo, s2
	s_cbranch_execz .LBB45_31
; %bb.30:
	s_load_b64 s[0:1], s[0:1], 0x40
	v_mov_b32_e32 v0, 0
	s_wait_kmcnt 0x0
	global_store_b32 v0, v14, s[0:1]
.LBB45_31:
	s_endpgm
	.section	.rodata,"a",@progbits
	.p2align	6, 0x0
	.amdhsa_kernel _ZN9rocsparseL23check_matrix_csr_deviceILj256ELj256EdliEEvT3_S1_T2_PKT1_PKS2_PKS1_S9_21rocsparse_index_base_22rocsparse_matrix_type_20rocsparse_fill_mode_23rocsparse_storage_mode_P22rocsparse_data_status_
		.amdhsa_group_segment_fixed_size 0
		.amdhsa_private_segment_fixed_size 0
		.amdhsa_kernarg_size 72
		.amdhsa_user_sgpr_count 2
		.amdhsa_user_sgpr_dispatch_ptr 0
		.amdhsa_user_sgpr_queue_ptr 0
		.amdhsa_user_sgpr_kernarg_segment_ptr 1
		.amdhsa_user_sgpr_dispatch_id 0
		.amdhsa_user_sgpr_kernarg_preload_length 0
		.amdhsa_user_sgpr_kernarg_preload_offset 0
		.amdhsa_user_sgpr_private_segment_size 0
		.amdhsa_wavefront_size32 1
		.amdhsa_uses_dynamic_stack 0
		.amdhsa_enable_private_segment 0
		.amdhsa_system_sgpr_workgroup_id_x 1
		.amdhsa_system_sgpr_workgroup_id_y 0
		.amdhsa_system_sgpr_workgroup_id_z 0
		.amdhsa_system_sgpr_workgroup_info 0
		.amdhsa_system_vgpr_workitem_id 0
		.amdhsa_next_free_vgpr 17
		.amdhsa_next_free_sgpr 24
		.amdhsa_named_barrier_count 0
		.amdhsa_reserve_vcc 1
		.amdhsa_float_round_mode_32 0
		.amdhsa_float_round_mode_16_64 0
		.amdhsa_float_denorm_mode_32 3
		.amdhsa_float_denorm_mode_16_64 3
		.amdhsa_fp16_overflow 0
		.amdhsa_memory_ordered 1
		.amdhsa_forward_progress 1
		.amdhsa_inst_pref_size 8
		.amdhsa_round_robin_scheduling 0
		.amdhsa_exception_fp_ieee_invalid_op 0
		.amdhsa_exception_fp_denorm_src 0
		.amdhsa_exception_fp_ieee_div_zero 0
		.amdhsa_exception_fp_ieee_overflow 0
		.amdhsa_exception_fp_ieee_underflow 0
		.amdhsa_exception_fp_ieee_inexact 0
		.amdhsa_exception_int_div_zero 0
	.end_amdhsa_kernel
	.section	.text._ZN9rocsparseL23check_matrix_csr_deviceILj256ELj256EdliEEvT3_S1_T2_PKT1_PKS2_PKS1_S9_21rocsparse_index_base_22rocsparse_matrix_type_20rocsparse_fill_mode_23rocsparse_storage_mode_P22rocsparse_data_status_,"axG",@progbits,_ZN9rocsparseL23check_matrix_csr_deviceILj256ELj256EdliEEvT3_S1_T2_PKT1_PKS2_PKS1_S9_21rocsparse_index_base_22rocsparse_matrix_type_20rocsparse_fill_mode_23rocsparse_storage_mode_P22rocsparse_data_status_,comdat
.Lfunc_end45:
	.size	_ZN9rocsparseL23check_matrix_csr_deviceILj256ELj256EdliEEvT3_S1_T2_PKT1_PKS2_PKS1_S9_21rocsparse_index_base_22rocsparse_matrix_type_20rocsparse_fill_mode_23rocsparse_storage_mode_P22rocsparse_data_status_, .Lfunc_end45-_ZN9rocsparseL23check_matrix_csr_deviceILj256ELj256EdliEEvT3_S1_T2_PKT1_PKS2_PKS1_S9_21rocsparse_index_base_22rocsparse_matrix_type_20rocsparse_fill_mode_23rocsparse_storage_mode_P22rocsparse_data_status_
                                        ; -- End function
	.set _ZN9rocsparseL23check_matrix_csr_deviceILj256ELj256EdliEEvT3_S1_T2_PKT1_PKS2_PKS1_S9_21rocsparse_index_base_22rocsparse_matrix_type_20rocsparse_fill_mode_23rocsparse_storage_mode_P22rocsparse_data_status_.num_vgpr, 17
	.set _ZN9rocsparseL23check_matrix_csr_deviceILj256ELj256EdliEEvT3_S1_T2_PKT1_PKS2_PKS1_S9_21rocsparse_index_base_22rocsparse_matrix_type_20rocsparse_fill_mode_23rocsparse_storage_mode_P22rocsparse_data_status_.num_agpr, 0
	.set _ZN9rocsparseL23check_matrix_csr_deviceILj256ELj256EdliEEvT3_S1_T2_PKT1_PKS2_PKS1_S9_21rocsparse_index_base_22rocsparse_matrix_type_20rocsparse_fill_mode_23rocsparse_storage_mode_P22rocsparse_data_status_.numbered_sgpr, 24
	.set _ZN9rocsparseL23check_matrix_csr_deviceILj256ELj256EdliEEvT3_S1_T2_PKT1_PKS2_PKS1_S9_21rocsparse_index_base_22rocsparse_matrix_type_20rocsparse_fill_mode_23rocsparse_storage_mode_P22rocsparse_data_status_.num_named_barrier, 0
	.set _ZN9rocsparseL23check_matrix_csr_deviceILj256ELj256EdliEEvT3_S1_T2_PKT1_PKS2_PKS1_S9_21rocsparse_index_base_22rocsparse_matrix_type_20rocsparse_fill_mode_23rocsparse_storage_mode_P22rocsparse_data_status_.private_seg_size, 0
	.set _ZN9rocsparseL23check_matrix_csr_deviceILj256ELj256EdliEEvT3_S1_T2_PKT1_PKS2_PKS1_S9_21rocsparse_index_base_22rocsparse_matrix_type_20rocsparse_fill_mode_23rocsparse_storage_mode_P22rocsparse_data_status_.uses_vcc, 1
	.set _ZN9rocsparseL23check_matrix_csr_deviceILj256ELj256EdliEEvT3_S1_T2_PKT1_PKS2_PKS1_S9_21rocsparse_index_base_22rocsparse_matrix_type_20rocsparse_fill_mode_23rocsparse_storage_mode_P22rocsparse_data_status_.uses_flat_scratch, 0
	.set _ZN9rocsparseL23check_matrix_csr_deviceILj256ELj256EdliEEvT3_S1_T2_PKT1_PKS2_PKS1_S9_21rocsparse_index_base_22rocsparse_matrix_type_20rocsparse_fill_mode_23rocsparse_storage_mode_P22rocsparse_data_status_.has_dyn_sized_stack, 0
	.set _ZN9rocsparseL23check_matrix_csr_deviceILj256ELj256EdliEEvT3_S1_T2_PKT1_PKS2_PKS1_S9_21rocsparse_index_base_22rocsparse_matrix_type_20rocsparse_fill_mode_23rocsparse_storage_mode_P22rocsparse_data_status_.has_recursion, 0
	.set _ZN9rocsparseL23check_matrix_csr_deviceILj256ELj256EdliEEvT3_S1_T2_PKT1_PKS2_PKS1_S9_21rocsparse_index_base_22rocsparse_matrix_type_20rocsparse_fill_mode_23rocsparse_storage_mode_P22rocsparse_data_status_.has_indirect_call, 0
	.section	.AMDGPU.csdata,"",@progbits
; Kernel info:
; codeLenInByte = 1024
; TotalNumSgprs: 26
; NumVgprs: 17
; ScratchSize: 0
; MemoryBound: 0
; FloatMode: 240
; IeeeMode: 1
; LDSByteSize: 0 bytes/workgroup (compile time only)
; SGPRBlocks: 0
; VGPRBlocks: 1
; NumSGPRsForWavesPerEU: 26
; NumVGPRsForWavesPerEU: 17
; NamedBarCnt: 0
; Occupancy: 16
; WaveLimiterHint : 0
; COMPUTE_PGM_RSRC2:SCRATCH_EN: 0
; COMPUTE_PGM_RSRC2:USER_SGPR: 2
; COMPUTE_PGM_RSRC2:TRAP_HANDLER: 0
; COMPUTE_PGM_RSRC2:TGID_X_EN: 1
; COMPUTE_PGM_RSRC2:TGID_Y_EN: 0
; COMPUTE_PGM_RSRC2:TGID_Z_EN: 0
; COMPUTE_PGM_RSRC2:TIDIG_COMP_CNT: 0
	.section	.text._ZN9rocsparseL23check_matrix_csr_deviceILj256ELj4E21rocsparse_complex_numIfEliEEvT3_S3_T2_PKT1_PKS4_PKS3_SB_21rocsparse_index_base_22rocsparse_matrix_type_20rocsparse_fill_mode_23rocsparse_storage_mode_P22rocsparse_data_status_,"axG",@progbits,_ZN9rocsparseL23check_matrix_csr_deviceILj256ELj4E21rocsparse_complex_numIfEliEEvT3_S3_T2_PKT1_PKS4_PKS3_SB_21rocsparse_index_base_22rocsparse_matrix_type_20rocsparse_fill_mode_23rocsparse_storage_mode_P22rocsparse_data_status_,comdat
	.globl	_ZN9rocsparseL23check_matrix_csr_deviceILj256ELj4E21rocsparse_complex_numIfEliEEvT3_S3_T2_PKT1_PKS4_PKS3_SB_21rocsparse_index_base_22rocsparse_matrix_type_20rocsparse_fill_mode_23rocsparse_storage_mode_P22rocsparse_data_status_ ; -- Begin function _ZN9rocsparseL23check_matrix_csr_deviceILj256ELj4E21rocsparse_complex_numIfEliEEvT3_S3_T2_PKT1_PKS4_PKS3_SB_21rocsparse_index_base_22rocsparse_matrix_type_20rocsparse_fill_mode_23rocsparse_storage_mode_P22rocsparse_data_status_
	.p2align	8
	.type	_ZN9rocsparseL23check_matrix_csr_deviceILj256ELj4E21rocsparse_complex_numIfEliEEvT3_S3_T2_PKT1_PKS4_PKS3_SB_21rocsparse_index_base_22rocsparse_matrix_type_20rocsparse_fill_mode_23rocsparse_storage_mode_P22rocsparse_data_status_,@function
_ZN9rocsparseL23check_matrix_csr_deviceILj256ELj4E21rocsparse_complex_numIfEliEEvT3_S3_T2_PKT1_PKS4_PKS3_SB_21rocsparse_index_base_22rocsparse_matrix_type_20rocsparse_fill_mode_23rocsparse_storage_mode_P22rocsparse_data_status_: ; @_ZN9rocsparseL23check_matrix_csr_deviceILj256ELj4E21rocsparse_complex_numIfEliEEvT3_S3_T2_PKT1_PKS4_PKS3_SB_21rocsparse_index_base_22rocsparse_matrix_type_20rocsparse_fill_mode_23rocsparse_storage_mode_P22rocsparse_data_status_
; %bb.0:
	s_bfe_u32 s2, ttmp6, 0x4000c
	s_load_b64 s[12:13], s[0:1], 0x0
	s_add_co_i32 s2, s2, 1
	s_and_b32 s3, ttmp6, 15
	s_mul_i32 s2, ttmp9, s2
	s_getreg_b32 s4, hwreg(HW_REG_IB_STS2, 6, 4)
	s_add_co_i32 s3, s3, s2
	s_cmp_eq_u32 s4, 0
	s_cselect_b32 s2, ttmp9, s3
	s_delay_alu instid0(SALU_CYCLE_1) | instskip(SKIP_1) | instid1(VALU_DEP_1)
	v_lshl_or_b32 v1, s2, 8, v0
	s_mov_b32 s2, exec_lo
	v_lshrrev_b32_e32 v2, 2, v1
	s_wait_kmcnt 0x0
	s_delay_alu instid0(VALU_DEP_1)
	v_cmpx_gt_i32_e64 s12, v2
	s_cbranch_execz .LBB46_31
; %bb.1:
	s_load_b64 s[2:3], s[0:1], 0x18
	v_dual_mov_b32 v3, 0 :: v_dual_mov_b32 v16, 3
	s_wait_kmcnt 0x0
	s_delay_alu instid0(VALU_DEP_1)
	v_lshl_add_u64 v[4:5], v[2:3], 3, s[2:3]
	s_load_b64 s[2:3], s[2:3], 0x0
	global_load_b128 v[8:11], v[4:5], off
	s_wait_loadcnt 0x0
	s_wait_kmcnt 0x0
	v_sub_nc_u64_e64 v[4:5], v[10:11], s[2:3]
	v_sub_nc_u64_e64 v[6:7], v[8:9], s[2:3]
	v_cmp_lt_i64_e64 s2, v[10:11], v[8:9]
	s_delay_alu instid0(VALU_DEP_3) | instskip(NEXT) | instid1(VALU_DEP_3)
	v_cmp_gt_i64_e32 vcc_lo, 0, v[4:5]
	v_cmp_lt_i64_e64 s3, -1, v[6:7]
	s_or_b32 s2, vcc_lo, s2
	s_delay_alu instid0(SALU_CYCLE_1) | instskip(SKIP_2) | instid1(SALU_CYCLE_1)
	s_xor_b32 s4, s2, -1
	s_mov_b32 s2, -1
	s_and_b32 s3, s3, s4
	s_and_saveexec_b32 s12, s3
	s_cbranch_execz .LBB46_29
; %bb.2:
	v_dual_mov_b32 v1, v3 :: v_dual_bitop2_b32 v0, 3, v0 bitop3:0x40
	v_mov_b32_e32 v16, 3
	s_mov_b32 s2, 0
	s_mov_b32 s14, exec_lo
	s_delay_alu instid0(VALU_DEP_2) | instskip(NEXT) | instid1(VALU_DEP_1)
	v_add_nc_u64_e32 v[0:1], v[6:7], v[0:1]
	v_cmpx_lt_u64_e64 v[0:1], v[4:5]
	s_cbranch_execz .LBB46_28
; %bb.3:
	s_clause 0x1
	s_load_b256 s[4:11], s[0:1], 0x20
	s_load_b64 s[2:3], s[0:1], 0x10
	v_lshl_add_u64 v[10:11], v[0:1], 2, -4
	s_wait_kmcnt 0x0
	s_cmp_lg_u32 s9, 0
	v_lshl_add_u64 v[12:13], v[0:1], 3, s[2:3]
	s_delay_alu instid0(VALU_DEP_2)
	v_add_nc_u64_e32 v[8:9], s[6:7], v[10:11]
	v_add_nc_u64_e32 v[10:11], s[4:5], v[10:11]
	s_cselect_b32 s9, -1, 0
	s_cmp_lg_u32 s10, 0
	v_add_nc_u64_e32 v[12:13], 4, v[12:13]
	s_cselect_b32 s4, -1, 0
	s_cmp_lg_u32 s11, 0
	s_mov_b32 s5, 0
	s_cselect_b32 s6, -1, 0
                                        ; implicit-def: $sgpr7
                                        ; implicit-def: $sgpr10
                                        ; implicit-def: $sgpr11
	s_branch .LBB46_10
.LBB46_4:                               ;   in Loop: Header=BB46_10 Depth=1
	s_or_b32 exec_lo, exec_lo, s3
	s_delay_alu instid0(SALU_CYCLE_1)
	s_or_not1_b32 s22, s2, exec_lo
	s_or_not1_b32 s2, s19, exec_lo
.LBB46_5:                               ;   in Loop: Header=BB46_10 Depth=1
	s_or_b32 exec_lo, exec_lo, s20
	s_delay_alu instid0(SALU_CYCLE_1)
	s_or_not1_b32 s3, s22, exec_lo
	s_or_not1_b32 s2, s2, exec_lo
.LBB46_6:                               ;   in Loop: Header=BB46_10 Depth=1
	s_or_b32 exec_lo, exec_lo, s18
	s_delay_alu instid0(SALU_CYCLE_1)
	s_or_not1_b32 s18, s3, exec_lo
	s_or_not1_b32 s3, s2, exec_lo
.LBB46_7:                               ;   in Loop: Header=BB46_10 Depth=1
	s_or_b32 exec_lo, exec_lo, s17
	s_delay_alu instid0(SALU_CYCLE_1)
	s_or_not1_b32 s17, s18, exec_lo
	s_or_not1_b32 s2, s3, exec_lo
.LBB46_8:                               ;   in Loop: Header=BB46_10 Depth=1
	s_or_b32 exec_lo, exec_lo, s16
	s_delay_alu instid0(SALU_CYCLE_1)
	s_and_not1_b32 s3, s11, exec_lo
	s_and_b32 s11, s17, exec_lo
	s_and_not1_b32 s10, s10, exec_lo
	s_and_b32 s2, s2, exec_lo
	s_or_b32 s11, s3, s11
	s_or_b32 s10, s10, s2
.LBB46_9:                               ;   in Loop: Header=BB46_10 Depth=1
	s_or_b32 exec_lo, exec_lo, s15
	s_delay_alu instid0(SALU_CYCLE_1) | instskip(NEXT) | instid1(SALU_CYCLE_1)
	s_and_b32 s2, exec_lo, s10
	s_or_b32 s5, s2, s5
	s_and_not1_b32 s2, s7, exec_lo
	s_and_b32 s3, s11, exec_lo
	s_delay_alu instid0(SALU_CYCLE_1)
	s_or_b32 s7, s2, s3
	s_and_not1_b32 exec_lo, exec_lo, s5
	s_cbranch_execz .LBB46_27
.LBB46_10:                              ; =>This Inner Loop Header: Depth=1
	global_load_b32 v3, v[10:11], off offset:4
	v_mov_b32_e32 v16, 4
	s_or_b32 s11, s11, exec_lo
	s_or_b32 s10, s10, exec_lo
	s_wait_loadcnt 0x0
	v_subrev_nc_u32_e32 v17, s8, v3
	s_delay_alu instid0(VALU_DEP_1) | instskip(SKIP_2) | instid1(SALU_CYCLE_1)
	v_cmp_lt_i32_e32 vcc_lo, -1, v17
	v_cmp_gt_i32_e64 s2, s13, v17
	s_and_b32 s2, vcc_lo, s2
	s_and_saveexec_b32 s15, s2
	s_cbranch_execz .LBB46_9
; %bb.11:                               ;   in Loop: Header=BB46_10 Depth=1
	v_cmp_le_i64_e64 s19, v[0:1], v[6:7]
	v_mov_b32_e32 v16, 4
	s_mov_b32 s16, exec_lo
	s_mov_b32 s3, s19
	v_cmpx_gt_i64_e64 v[0:1], v[6:7]
	s_cbranch_execz .LBB46_13
; %bb.12:                               ;   in Loop: Header=BB46_10 Depth=1
	global_load_b64 v[14:15], v[8:9], off
	s_wait_loadcnt 0x0
	v_subrev_nc_u32_e32 v16, s8, v14
	v_cmp_ne_u32_e64 s3, v15, v14
	s_delay_alu instid0(VALU_DEP_2) | instskip(SKIP_3) | instid1(SALU_CYCLE_1)
	v_cmp_lt_i32_e32 vcc_lo, -1, v16
	v_cmp_gt_i32_e64 s2, s13, v16
	v_mov_b32_e32 v16, 5
	s_and_b32 s2, vcc_lo, s2
	s_xor_b32 s2, s2, -1
	s_delay_alu instid0(SALU_CYCLE_1) | instskip(SKIP_2) | instid1(SALU_CYCLE_1)
	s_or_b32 s2, s3, s2
	s_and_not1_b32 s3, s19, exec_lo
	s_and_b32 s2, s2, exec_lo
	s_or_b32 s3, s3, s2
.LBB46_13:                              ;   in Loop: Header=BB46_10 Depth=1
	s_or_b32 exec_lo, exec_lo, s16
	s_mov_b32 s2, -1
	s_mov_b32 s17, -1
	s_and_saveexec_b32 s16, s3
	s_cbranch_execz .LBB46_8
; %bb.14:                               ;   in Loop: Header=BB46_10 Depth=1
	global_load_b64 v[14:15], v[12:13], off offset:-4
	v_mov_b32_e32 v16, 1
	s_mov_b32 s3, -1
	s_mov_b32 s18, -1
	s_wait_loadcnt 0x0
	v_cmp_neq_f32_e32 vcc_lo, 0x7f800000, v14
	v_cmp_neq_f32_e64 s2, 0x7f800000, v15
	s_and_b32 s2, vcc_lo, s2
	s_delay_alu instid0(SALU_CYCLE_1)
	s_and_saveexec_b32 s17, s2
	s_cbranch_execz .LBB46_7
; %bb.15:                               ;   in Loop: Header=BB46_10 Depth=1
	v_mov_b32_e32 v16, 2
	s_mov_b32 s2, -1
	s_mov_b32 s18, exec_lo
	v_cmpx_o_f32_e32 v14, v15
	s_cbranch_execz .LBB46_6
; %bb.16:                               ;   in Loop: Header=BB46_10 Depth=1
	s_and_b32 vcc_lo, exec_lo, s9
	s_cbranch_vccz .LBB46_19
; %bb.17:                               ;   in Loop: Header=BB46_10 Depth=1
	s_and_b32 vcc_lo, exec_lo, s4
	s_cbranch_vccz .LBB46_20
; %bb.18:                               ;   in Loop: Header=BB46_10 Depth=1
	v_cmp_le_i32_e32 vcc_lo, v2, v17
	s_mov_b32 s3, 7
	s_and_b32 s21, vcc_lo, exec_lo
	s_cbranch_execz .LBB46_21
	s_branch .LBB46_22
.LBB46_19:                              ;   in Loop: Header=BB46_10 Depth=1
	s_mov_b32 s3, 2
	s_mov_b32 s21, -1
	s_branch .LBB46_22
.LBB46_20:                              ;   in Loop: Header=BB46_10 Depth=1
	s_mov_b32 s21, 0
	s_mov_b32 s3, 2
.LBB46_21:                              ;   in Loop: Header=BB46_10 Depth=1
	v_cmp_ge_i32_e32 vcc_lo, v2, v17
	s_and_not1_b32 s20, s21, exec_lo
	s_mov_b32 s3, 7
	s_and_b32 s21, vcc_lo, exec_lo
	s_delay_alu instid0(SALU_CYCLE_1)
	s_or_b32 s21, s20, s21
.LBB46_22:                              ;   in Loop: Header=BB46_10 Depth=1
	v_mov_b32_e32 v16, s3
	s_mov_b32 s22, -1
	s_and_saveexec_b32 s20, s21
	s_cbranch_execz .LBB46_5
; %bb.23:                               ;   in Loop: Header=BB46_10 Depth=1
	v_mov_b32_e32 v16, s3
	s_nor_b32 s2, s6, s19
	s_mov_b32 s19, -1
	s_and_saveexec_b32 s21, s2
	s_cbranch_execz .LBB46_25
; %bb.24:                               ;   in Loop: Header=BB46_10 Depth=1
	global_load_b32 v14, v[10:11], off
	v_mov_b32_e32 v16, 6
	s_wait_loadcnt 0x0
	v_subrev_nc_u32_e32 v15, s8, v14
	v_cmp_gt_i32_e64 s3, v3, v14
	s_delay_alu instid0(VALU_DEP_2) | instskip(SKIP_2) | instid1(SALU_CYCLE_1)
	v_cmp_lt_i32_e32 vcc_lo, -1, v15
	v_cmp_gt_i32_e64 s2, s13, v15
	s_and_b32 s2, vcc_lo, s2
	s_xor_b32 s2, s2, -1
	s_delay_alu instid0(SALU_CYCLE_1) | instskip(NEXT) | instid1(SALU_CYCLE_1)
	s_or_b32 s2, s3, s2
	s_or_not1_b32 s22, s2, exec_lo
.LBB46_25:                              ;   in Loop: Header=BB46_10 Depth=1
	s_or_b32 exec_lo, exec_lo, s21
	s_mov_b32 s2, -1
	s_and_saveexec_b32 s3, s22
	s_cbranch_execz .LBB46_4
; %bb.26:                               ;   in Loop: Header=BB46_10 Depth=1
	v_add_nc_u64_e32 v[0:1], 4, v[0:1]
	v_add_nc_u64_e32 v[8:9], 16, v[8:9]
	;; [unrolled: 1-line block ×4, first 2 shown]
	s_xor_b32 s2, exec_lo, -1
	s_delay_alu instid0(VALU_DEP_4)
	v_cmp_ge_i64_e32 vcc_lo, v[0:1], v[4:5]
	s_or_not1_b32 s19, vcc_lo, exec_lo
	s_branch .LBB46_4
.LBB46_27:
	s_or_b32 exec_lo, exec_lo, s5
	s_delay_alu instid0(SALU_CYCLE_1)
	s_and_b32 s2, s7, exec_lo
.LBB46_28:
	s_or_b32 exec_lo, exec_lo, s14
	s_delay_alu instid0(SALU_CYCLE_1)
	s_or_not1_b32 s2, s2, exec_lo
.LBB46_29:
	s_or_b32 exec_lo, exec_lo, s12
	s_delay_alu instid0(SALU_CYCLE_1)
	s_and_b32 exec_lo, exec_lo, s2
	s_cbranch_execz .LBB46_31
; %bb.30:
	s_load_b64 s[0:1], s[0:1], 0x40
	v_mov_b32_e32 v0, 0
	s_wait_kmcnt 0x0
	global_store_b32 v0, v16, s[0:1]
.LBB46_31:
	s_endpgm
	.section	.rodata,"a",@progbits
	.p2align	6, 0x0
	.amdhsa_kernel _ZN9rocsparseL23check_matrix_csr_deviceILj256ELj4E21rocsparse_complex_numIfEliEEvT3_S3_T2_PKT1_PKS4_PKS3_SB_21rocsparse_index_base_22rocsparse_matrix_type_20rocsparse_fill_mode_23rocsparse_storage_mode_P22rocsparse_data_status_
		.amdhsa_group_segment_fixed_size 0
		.amdhsa_private_segment_fixed_size 0
		.amdhsa_kernarg_size 72
		.amdhsa_user_sgpr_count 2
		.amdhsa_user_sgpr_dispatch_ptr 0
		.amdhsa_user_sgpr_queue_ptr 0
		.amdhsa_user_sgpr_kernarg_segment_ptr 1
		.amdhsa_user_sgpr_dispatch_id 0
		.amdhsa_user_sgpr_kernarg_preload_length 0
		.amdhsa_user_sgpr_kernarg_preload_offset 0
		.amdhsa_user_sgpr_private_segment_size 0
		.amdhsa_wavefront_size32 1
		.amdhsa_uses_dynamic_stack 0
		.amdhsa_enable_private_segment 0
		.amdhsa_system_sgpr_workgroup_id_x 1
		.amdhsa_system_sgpr_workgroup_id_y 0
		.amdhsa_system_sgpr_workgroup_id_z 0
		.amdhsa_system_sgpr_workgroup_info 0
		.amdhsa_system_vgpr_workitem_id 0
		.amdhsa_next_free_vgpr 18
		.amdhsa_next_free_sgpr 23
		.amdhsa_named_barrier_count 0
		.amdhsa_reserve_vcc 1
		.amdhsa_float_round_mode_32 0
		.amdhsa_float_round_mode_16_64 0
		.amdhsa_float_denorm_mode_32 3
		.amdhsa_float_denorm_mode_16_64 3
		.amdhsa_fp16_overflow 0
		.amdhsa_memory_ordered 1
		.amdhsa_forward_progress 1
		.amdhsa_inst_pref_size 9
		.amdhsa_round_robin_scheduling 0
		.amdhsa_exception_fp_ieee_invalid_op 0
		.amdhsa_exception_fp_denorm_src 0
		.amdhsa_exception_fp_ieee_div_zero 0
		.amdhsa_exception_fp_ieee_overflow 0
		.amdhsa_exception_fp_ieee_underflow 0
		.amdhsa_exception_fp_ieee_inexact 0
		.amdhsa_exception_int_div_zero 0
	.end_amdhsa_kernel
	.section	.text._ZN9rocsparseL23check_matrix_csr_deviceILj256ELj4E21rocsparse_complex_numIfEliEEvT3_S3_T2_PKT1_PKS4_PKS3_SB_21rocsparse_index_base_22rocsparse_matrix_type_20rocsparse_fill_mode_23rocsparse_storage_mode_P22rocsparse_data_status_,"axG",@progbits,_ZN9rocsparseL23check_matrix_csr_deviceILj256ELj4E21rocsparse_complex_numIfEliEEvT3_S3_T2_PKT1_PKS4_PKS3_SB_21rocsparse_index_base_22rocsparse_matrix_type_20rocsparse_fill_mode_23rocsparse_storage_mode_P22rocsparse_data_status_,comdat
.Lfunc_end46:
	.size	_ZN9rocsparseL23check_matrix_csr_deviceILj256ELj4E21rocsparse_complex_numIfEliEEvT3_S3_T2_PKT1_PKS4_PKS3_SB_21rocsparse_index_base_22rocsparse_matrix_type_20rocsparse_fill_mode_23rocsparse_storage_mode_P22rocsparse_data_status_, .Lfunc_end46-_ZN9rocsparseL23check_matrix_csr_deviceILj256ELj4E21rocsparse_complex_numIfEliEEvT3_S3_T2_PKT1_PKS4_PKS3_SB_21rocsparse_index_base_22rocsparse_matrix_type_20rocsparse_fill_mode_23rocsparse_storage_mode_P22rocsparse_data_status_
                                        ; -- End function
	.set _ZN9rocsparseL23check_matrix_csr_deviceILj256ELj4E21rocsparse_complex_numIfEliEEvT3_S3_T2_PKT1_PKS4_PKS3_SB_21rocsparse_index_base_22rocsparse_matrix_type_20rocsparse_fill_mode_23rocsparse_storage_mode_P22rocsparse_data_status_.num_vgpr, 18
	.set _ZN9rocsparseL23check_matrix_csr_deviceILj256ELj4E21rocsparse_complex_numIfEliEEvT3_S3_T2_PKT1_PKS4_PKS3_SB_21rocsparse_index_base_22rocsparse_matrix_type_20rocsparse_fill_mode_23rocsparse_storage_mode_P22rocsparse_data_status_.num_agpr, 0
	.set _ZN9rocsparseL23check_matrix_csr_deviceILj256ELj4E21rocsparse_complex_numIfEliEEvT3_S3_T2_PKT1_PKS4_PKS3_SB_21rocsparse_index_base_22rocsparse_matrix_type_20rocsparse_fill_mode_23rocsparse_storage_mode_P22rocsparse_data_status_.numbered_sgpr, 23
	.set _ZN9rocsparseL23check_matrix_csr_deviceILj256ELj4E21rocsparse_complex_numIfEliEEvT3_S3_T2_PKT1_PKS4_PKS3_SB_21rocsparse_index_base_22rocsparse_matrix_type_20rocsparse_fill_mode_23rocsparse_storage_mode_P22rocsparse_data_status_.num_named_barrier, 0
	.set _ZN9rocsparseL23check_matrix_csr_deviceILj256ELj4E21rocsparse_complex_numIfEliEEvT3_S3_T2_PKT1_PKS4_PKS3_SB_21rocsparse_index_base_22rocsparse_matrix_type_20rocsparse_fill_mode_23rocsparse_storage_mode_P22rocsparse_data_status_.private_seg_size, 0
	.set _ZN9rocsparseL23check_matrix_csr_deviceILj256ELj4E21rocsparse_complex_numIfEliEEvT3_S3_T2_PKT1_PKS4_PKS3_SB_21rocsparse_index_base_22rocsparse_matrix_type_20rocsparse_fill_mode_23rocsparse_storage_mode_P22rocsparse_data_status_.uses_vcc, 1
	.set _ZN9rocsparseL23check_matrix_csr_deviceILj256ELj4E21rocsparse_complex_numIfEliEEvT3_S3_T2_PKT1_PKS4_PKS3_SB_21rocsparse_index_base_22rocsparse_matrix_type_20rocsparse_fill_mode_23rocsparse_storage_mode_P22rocsparse_data_status_.uses_flat_scratch, 0
	.set _ZN9rocsparseL23check_matrix_csr_deviceILj256ELj4E21rocsparse_complex_numIfEliEEvT3_S3_T2_PKT1_PKS4_PKS3_SB_21rocsparse_index_base_22rocsparse_matrix_type_20rocsparse_fill_mode_23rocsparse_storage_mode_P22rocsparse_data_status_.has_dyn_sized_stack, 0
	.set _ZN9rocsparseL23check_matrix_csr_deviceILj256ELj4E21rocsparse_complex_numIfEliEEvT3_S3_T2_PKT1_PKS4_PKS3_SB_21rocsparse_index_base_22rocsparse_matrix_type_20rocsparse_fill_mode_23rocsparse_storage_mode_P22rocsparse_data_status_.has_recursion, 0
	.set _ZN9rocsparseL23check_matrix_csr_deviceILj256ELj4E21rocsparse_complex_numIfEliEEvT3_S3_T2_PKT1_PKS4_PKS3_SB_21rocsparse_index_base_22rocsparse_matrix_type_20rocsparse_fill_mode_23rocsparse_storage_mode_P22rocsparse_data_status_.has_indirect_call, 0
	.section	.AMDGPU.csdata,"",@progbits
; Kernel info:
; codeLenInByte = 1060
; TotalNumSgprs: 25
; NumVgprs: 18
; ScratchSize: 0
; MemoryBound: 0
; FloatMode: 240
; IeeeMode: 1
; LDSByteSize: 0 bytes/workgroup (compile time only)
; SGPRBlocks: 0
; VGPRBlocks: 1
; NumSGPRsForWavesPerEU: 25
; NumVGPRsForWavesPerEU: 18
; NamedBarCnt: 0
; Occupancy: 16
; WaveLimiterHint : 0
; COMPUTE_PGM_RSRC2:SCRATCH_EN: 0
; COMPUTE_PGM_RSRC2:USER_SGPR: 2
; COMPUTE_PGM_RSRC2:TRAP_HANDLER: 0
; COMPUTE_PGM_RSRC2:TGID_X_EN: 1
; COMPUTE_PGM_RSRC2:TGID_Y_EN: 0
; COMPUTE_PGM_RSRC2:TGID_Z_EN: 0
; COMPUTE_PGM_RSRC2:TIDIG_COMP_CNT: 0
	.section	.text._ZN9rocsparseL23check_matrix_csr_deviceILj256ELj8E21rocsparse_complex_numIfEliEEvT3_S3_T2_PKT1_PKS4_PKS3_SB_21rocsparse_index_base_22rocsparse_matrix_type_20rocsparse_fill_mode_23rocsparse_storage_mode_P22rocsparse_data_status_,"axG",@progbits,_ZN9rocsparseL23check_matrix_csr_deviceILj256ELj8E21rocsparse_complex_numIfEliEEvT3_S3_T2_PKT1_PKS4_PKS3_SB_21rocsparse_index_base_22rocsparse_matrix_type_20rocsparse_fill_mode_23rocsparse_storage_mode_P22rocsparse_data_status_,comdat
	.globl	_ZN9rocsparseL23check_matrix_csr_deviceILj256ELj8E21rocsparse_complex_numIfEliEEvT3_S3_T2_PKT1_PKS4_PKS3_SB_21rocsparse_index_base_22rocsparse_matrix_type_20rocsparse_fill_mode_23rocsparse_storage_mode_P22rocsparse_data_status_ ; -- Begin function _ZN9rocsparseL23check_matrix_csr_deviceILj256ELj8E21rocsparse_complex_numIfEliEEvT3_S3_T2_PKT1_PKS4_PKS3_SB_21rocsparse_index_base_22rocsparse_matrix_type_20rocsparse_fill_mode_23rocsparse_storage_mode_P22rocsparse_data_status_
	.p2align	8
	.type	_ZN9rocsparseL23check_matrix_csr_deviceILj256ELj8E21rocsparse_complex_numIfEliEEvT3_S3_T2_PKT1_PKS4_PKS3_SB_21rocsparse_index_base_22rocsparse_matrix_type_20rocsparse_fill_mode_23rocsparse_storage_mode_P22rocsparse_data_status_,@function
_ZN9rocsparseL23check_matrix_csr_deviceILj256ELj8E21rocsparse_complex_numIfEliEEvT3_S3_T2_PKT1_PKS4_PKS3_SB_21rocsparse_index_base_22rocsparse_matrix_type_20rocsparse_fill_mode_23rocsparse_storage_mode_P22rocsparse_data_status_: ; @_ZN9rocsparseL23check_matrix_csr_deviceILj256ELj8E21rocsparse_complex_numIfEliEEvT3_S3_T2_PKT1_PKS4_PKS3_SB_21rocsparse_index_base_22rocsparse_matrix_type_20rocsparse_fill_mode_23rocsparse_storage_mode_P22rocsparse_data_status_
; %bb.0:
	s_bfe_u32 s2, ttmp6, 0x4000c
	s_load_b64 s[12:13], s[0:1], 0x0
	s_add_co_i32 s2, s2, 1
	s_and_b32 s3, ttmp6, 15
	s_mul_i32 s2, ttmp9, s2
	s_getreg_b32 s4, hwreg(HW_REG_IB_STS2, 6, 4)
	s_add_co_i32 s3, s3, s2
	s_cmp_eq_u32 s4, 0
	s_cselect_b32 s2, ttmp9, s3
	s_delay_alu instid0(SALU_CYCLE_1) | instskip(SKIP_1) | instid1(VALU_DEP_1)
	v_lshl_or_b32 v1, s2, 8, v0
	s_mov_b32 s2, exec_lo
	v_lshrrev_b32_e32 v14, 3, v1
	s_wait_kmcnt 0x0
	s_delay_alu instid0(VALU_DEP_1)
	v_cmpx_gt_i32_e64 s12, v14
	s_cbranch_execz .LBB47_31
; %bb.1:
	s_load_b64 s[2:3], s[0:1], 0x18
	v_dual_lshlrev_b32 v1, 3, v14 :: v_dual_mov_b32 v15, 3
	s_wait_kmcnt 0x0
	global_load_b128 v[6:9], v1, s[2:3]
	s_wait_xcnt 0x0
	s_load_b64 s[2:3], s[2:3], 0x0
	s_wait_loadcnt 0x0
	s_wait_kmcnt 0x0
	v_sub_nc_u64_e64 v[2:3], v[8:9], s[2:3]
	v_sub_nc_u64_e64 v[4:5], v[6:7], s[2:3]
	v_cmp_lt_i64_e64 s2, v[8:9], v[6:7]
	s_delay_alu instid0(VALU_DEP_3) | instskip(NEXT) | instid1(VALU_DEP_3)
	v_cmp_gt_i64_e32 vcc_lo, 0, v[2:3]
	v_cmp_lt_i64_e64 s3, -1, v[4:5]
	s_or_b32 s2, vcc_lo, s2
	s_delay_alu instid0(SALU_CYCLE_1) | instskip(SKIP_2) | instid1(SALU_CYCLE_1)
	s_xor_b32 s4, s2, -1
	s_mov_b32 s2, -1
	s_and_b32 s3, s3, s4
	s_and_saveexec_b32 s12, s3
	s_cbranch_execz .LBB47_29
; %bb.2:
	v_dual_mov_b32 v1, 0 :: v_dual_bitop2_b32 v0, 7, v0 bitop3:0x40
	v_mov_b32_e32 v15, 3
	s_mov_b32 s2, 0
	s_mov_b32 s14, exec_lo
	s_delay_alu instid0(VALU_DEP_2) | instskip(NEXT) | instid1(VALU_DEP_1)
	v_add_nc_u64_e32 v[0:1], v[4:5], v[0:1]
	v_cmpx_lt_u64_e64 v[0:1], v[2:3]
	s_cbranch_execz .LBB47_28
; %bb.3:
	s_clause 0x1
	s_load_b256 s[4:11], s[0:1], 0x20
	s_load_b64 s[2:3], s[0:1], 0x10
	v_lshl_add_u64 v[8:9], v[0:1], 2, -4
	s_wait_kmcnt 0x0
	s_cmp_lg_u32 s9, 0
	v_lshl_add_u64 v[10:11], v[0:1], 3, s[2:3]
	s_delay_alu instid0(VALU_DEP_2)
	v_add_nc_u64_e32 v[6:7], s[6:7], v[8:9]
	v_add_nc_u64_e32 v[8:9], s[4:5], v[8:9]
	s_cselect_b32 s9, -1, 0
	s_cmp_lg_u32 s10, 0
	v_add_nc_u64_e32 v[10:11], 4, v[10:11]
	s_cselect_b32 s4, -1, 0
	s_cmp_lg_u32 s11, 0
	s_mov_b32 s5, 0
	s_cselect_b32 s6, -1, 0
                                        ; implicit-def: $sgpr7
                                        ; implicit-def: $sgpr10
                                        ; implicit-def: $sgpr11
	s_branch .LBB47_10
.LBB47_4:                               ;   in Loop: Header=BB47_10 Depth=1
	s_or_b32 exec_lo, exec_lo, s3
	s_delay_alu instid0(SALU_CYCLE_1)
	s_or_not1_b32 s22, s2, exec_lo
	s_or_not1_b32 s2, s19, exec_lo
.LBB47_5:                               ;   in Loop: Header=BB47_10 Depth=1
	s_or_b32 exec_lo, exec_lo, s20
	s_delay_alu instid0(SALU_CYCLE_1)
	s_or_not1_b32 s3, s22, exec_lo
	s_or_not1_b32 s2, s2, exec_lo
.LBB47_6:                               ;   in Loop: Header=BB47_10 Depth=1
	s_or_b32 exec_lo, exec_lo, s18
	s_delay_alu instid0(SALU_CYCLE_1)
	s_or_not1_b32 s18, s3, exec_lo
	s_or_not1_b32 s3, s2, exec_lo
.LBB47_7:                               ;   in Loop: Header=BB47_10 Depth=1
	s_or_b32 exec_lo, exec_lo, s17
	s_delay_alu instid0(SALU_CYCLE_1)
	s_or_not1_b32 s17, s18, exec_lo
	s_or_not1_b32 s2, s3, exec_lo
.LBB47_8:                               ;   in Loop: Header=BB47_10 Depth=1
	s_or_b32 exec_lo, exec_lo, s16
	s_delay_alu instid0(SALU_CYCLE_1)
	s_and_not1_b32 s3, s11, exec_lo
	s_and_b32 s11, s17, exec_lo
	s_and_not1_b32 s10, s10, exec_lo
	s_and_b32 s2, s2, exec_lo
	s_or_b32 s11, s3, s11
	s_or_b32 s10, s10, s2
.LBB47_9:                               ;   in Loop: Header=BB47_10 Depth=1
	s_or_b32 exec_lo, exec_lo, s15
	s_delay_alu instid0(SALU_CYCLE_1) | instskip(NEXT) | instid1(SALU_CYCLE_1)
	s_and_b32 s2, exec_lo, s10
	s_or_b32 s5, s2, s5
	s_and_not1_b32 s2, s7, exec_lo
	s_and_b32 s3, s11, exec_lo
	s_delay_alu instid0(SALU_CYCLE_1)
	s_or_b32 s7, s2, s3
	s_and_not1_b32 exec_lo, exec_lo, s5
	s_cbranch_execz .LBB47_27
.LBB47_10:                              ; =>This Inner Loop Header: Depth=1
	global_load_b32 v16, v[8:9], off offset:4
	v_mov_b32_e32 v15, 4
	s_or_b32 s11, s11, exec_lo
	s_or_b32 s10, s10, exec_lo
	s_wait_loadcnt 0x0
	v_subrev_nc_u32_e32 v17, s8, v16
	s_delay_alu instid0(VALU_DEP_1) | instskip(SKIP_2) | instid1(SALU_CYCLE_1)
	v_cmp_lt_i32_e32 vcc_lo, -1, v17
	v_cmp_gt_i32_e64 s2, s13, v17
	s_and_b32 s2, vcc_lo, s2
	s_and_saveexec_b32 s15, s2
	s_cbranch_execz .LBB47_9
; %bb.11:                               ;   in Loop: Header=BB47_10 Depth=1
	v_cmp_le_i64_e64 s19, v[0:1], v[4:5]
	v_mov_b32_e32 v15, 4
	s_mov_b32 s16, exec_lo
	s_mov_b32 s3, s19
	v_cmpx_gt_i64_e64 v[0:1], v[4:5]
	s_cbranch_execz .LBB47_13
; %bb.12:                               ;   in Loop: Header=BB47_10 Depth=1
	global_load_b64 v[12:13], v[6:7], off
	s_wait_loadcnt 0x0
	v_subrev_nc_u32_e32 v15, s8, v12
	v_cmp_ne_u32_e64 s3, v13, v12
	s_delay_alu instid0(VALU_DEP_2) | instskip(SKIP_3) | instid1(SALU_CYCLE_1)
	v_cmp_lt_i32_e32 vcc_lo, -1, v15
	v_cmp_gt_i32_e64 s2, s13, v15
	v_mov_b32_e32 v15, 5
	s_and_b32 s2, vcc_lo, s2
	s_xor_b32 s2, s2, -1
	s_delay_alu instid0(SALU_CYCLE_1) | instskip(SKIP_2) | instid1(SALU_CYCLE_1)
	s_or_b32 s2, s3, s2
	s_and_not1_b32 s3, s19, exec_lo
	s_and_b32 s2, s2, exec_lo
	s_or_b32 s3, s3, s2
.LBB47_13:                              ;   in Loop: Header=BB47_10 Depth=1
	s_or_b32 exec_lo, exec_lo, s16
	s_mov_b32 s2, -1
	s_mov_b32 s17, -1
	s_and_saveexec_b32 s16, s3
	s_cbranch_execz .LBB47_8
; %bb.14:                               ;   in Loop: Header=BB47_10 Depth=1
	global_load_b64 v[12:13], v[10:11], off offset:-4
	v_mov_b32_e32 v15, 1
	s_mov_b32 s3, -1
	s_mov_b32 s18, -1
	s_wait_loadcnt 0x0
	v_cmp_neq_f32_e32 vcc_lo, 0x7f800000, v12
	v_cmp_neq_f32_e64 s2, 0x7f800000, v13
	s_and_b32 s2, vcc_lo, s2
	s_delay_alu instid0(SALU_CYCLE_1)
	s_and_saveexec_b32 s17, s2
	s_cbranch_execz .LBB47_7
; %bb.15:                               ;   in Loop: Header=BB47_10 Depth=1
	v_mov_b32_e32 v15, 2
	s_mov_b32 s2, -1
	s_mov_b32 s18, exec_lo
	v_cmpx_o_f32_e32 v12, v13
	s_cbranch_execz .LBB47_6
; %bb.16:                               ;   in Loop: Header=BB47_10 Depth=1
	s_and_b32 vcc_lo, exec_lo, s9
	s_cbranch_vccz .LBB47_19
; %bb.17:                               ;   in Loop: Header=BB47_10 Depth=1
	s_and_b32 vcc_lo, exec_lo, s4
	s_cbranch_vccz .LBB47_20
; %bb.18:                               ;   in Loop: Header=BB47_10 Depth=1
	v_cmp_le_i32_e32 vcc_lo, v14, v17
	s_mov_b32 s3, 7
	s_and_b32 s21, vcc_lo, exec_lo
	s_cbranch_execz .LBB47_21
	s_branch .LBB47_22
.LBB47_19:                              ;   in Loop: Header=BB47_10 Depth=1
	s_mov_b32 s3, 2
	s_mov_b32 s21, -1
	s_branch .LBB47_22
.LBB47_20:                              ;   in Loop: Header=BB47_10 Depth=1
	s_mov_b32 s21, 0
	s_mov_b32 s3, 2
.LBB47_21:                              ;   in Loop: Header=BB47_10 Depth=1
	v_cmp_ge_i32_e32 vcc_lo, v14, v17
	s_and_not1_b32 s20, s21, exec_lo
	s_mov_b32 s3, 7
	s_and_b32 s21, vcc_lo, exec_lo
	s_delay_alu instid0(SALU_CYCLE_1)
	s_or_b32 s21, s20, s21
.LBB47_22:                              ;   in Loop: Header=BB47_10 Depth=1
	v_mov_b32_e32 v15, s3
	s_mov_b32 s22, -1
	s_and_saveexec_b32 s20, s21
	s_cbranch_execz .LBB47_5
; %bb.23:                               ;   in Loop: Header=BB47_10 Depth=1
	v_mov_b32_e32 v15, s3
	s_nor_b32 s2, s6, s19
	s_mov_b32 s19, -1
	s_and_saveexec_b32 s21, s2
	s_cbranch_execz .LBB47_25
; %bb.24:                               ;   in Loop: Header=BB47_10 Depth=1
	global_load_b32 v12, v[8:9], off
	v_mov_b32_e32 v15, 6
	s_wait_loadcnt 0x0
	v_subrev_nc_u32_e32 v13, s8, v12
	v_cmp_gt_i32_e64 s3, v16, v12
	s_delay_alu instid0(VALU_DEP_2) | instskip(SKIP_2) | instid1(SALU_CYCLE_1)
	v_cmp_lt_i32_e32 vcc_lo, -1, v13
	v_cmp_gt_i32_e64 s2, s13, v13
	s_and_b32 s2, vcc_lo, s2
	s_xor_b32 s2, s2, -1
	s_delay_alu instid0(SALU_CYCLE_1) | instskip(NEXT) | instid1(SALU_CYCLE_1)
	s_or_b32 s2, s3, s2
	s_or_not1_b32 s22, s2, exec_lo
.LBB47_25:                              ;   in Loop: Header=BB47_10 Depth=1
	s_or_b32 exec_lo, exec_lo, s21
	s_mov_b32 s2, -1
	s_and_saveexec_b32 s3, s22
	s_cbranch_execz .LBB47_4
; %bb.26:                               ;   in Loop: Header=BB47_10 Depth=1
	v_add_nc_u64_e32 v[0:1], 8, v[0:1]
	v_add_nc_u64_e32 v[6:7], 32, v[6:7]
	;; [unrolled: 1-line block ×4, first 2 shown]
	s_xor_b32 s2, exec_lo, -1
	s_delay_alu instid0(VALU_DEP_4)
	v_cmp_ge_i64_e32 vcc_lo, v[0:1], v[2:3]
	s_or_not1_b32 s19, vcc_lo, exec_lo
	s_branch .LBB47_4
.LBB47_27:
	s_or_b32 exec_lo, exec_lo, s5
	s_delay_alu instid0(SALU_CYCLE_1)
	s_and_b32 s2, s7, exec_lo
.LBB47_28:
	s_or_b32 exec_lo, exec_lo, s14
	s_delay_alu instid0(SALU_CYCLE_1)
	s_or_not1_b32 s2, s2, exec_lo
.LBB47_29:
	s_or_b32 exec_lo, exec_lo, s12
	s_delay_alu instid0(SALU_CYCLE_1)
	s_and_b32 exec_lo, exec_lo, s2
	s_cbranch_execz .LBB47_31
; %bb.30:
	s_load_b64 s[0:1], s[0:1], 0x40
	v_mov_b32_e32 v0, 0
	s_wait_kmcnt 0x0
	global_store_b32 v0, v15, s[0:1]
.LBB47_31:
	s_endpgm
	.section	.rodata,"a",@progbits
	.p2align	6, 0x0
	.amdhsa_kernel _ZN9rocsparseL23check_matrix_csr_deviceILj256ELj8E21rocsparse_complex_numIfEliEEvT3_S3_T2_PKT1_PKS4_PKS3_SB_21rocsparse_index_base_22rocsparse_matrix_type_20rocsparse_fill_mode_23rocsparse_storage_mode_P22rocsparse_data_status_
		.amdhsa_group_segment_fixed_size 0
		.amdhsa_private_segment_fixed_size 0
		.amdhsa_kernarg_size 72
		.amdhsa_user_sgpr_count 2
		.amdhsa_user_sgpr_dispatch_ptr 0
		.amdhsa_user_sgpr_queue_ptr 0
		.amdhsa_user_sgpr_kernarg_segment_ptr 1
		.amdhsa_user_sgpr_dispatch_id 0
		.amdhsa_user_sgpr_kernarg_preload_length 0
		.amdhsa_user_sgpr_kernarg_preload_offset 0
		.amdhsa_user_sgpr_private_segment_size 0
		.amdhsa_wavefront_size32 1
		.amdhsa_uses_dynamic_stack 0
		.amdhsa_enable_private_segment 0
		.amdhsa_system_sgpr_workgroup_id_x 1
		.amdhsa_system_sgpr_workgroup_id_y 0
		.amdhsa_system_sgpr_workgroup_id_z 0
		.amdhsa_system_sgpr_workgroup_info 0
		.amdhsa_system_vgpr_workitem_id 0
		.amdhsa_next_free_vgpr 18
		.amdhsa_next_free_sgpr 23
		.amdhsa_named_barrier_count 0
		.amdhsa_reserve_vcc 1
		.amdhsa_float_round_mode_32 0
		.amdhsa_float_round_mode_16_64 0
		.amdhsa_float_denorm_mode_32 3
		.amdhsa_float_denorm_mode_16_64 3
		.amdhsa_fp16_overflow 0
		.amdhsa_memory_ordered 1
		.amdhsa_forward_progress 1
		.amdhsa_inst_pref_size 9
		.amdhsa_round_robin_scheduling 0
		.amdhsa_exception_fp_ieee_invalid_op 0
		.amdhsa_exception_fp_denorm_src 0
		.amdhsa_exception_fp_ieee_div_zero 0
		.amdhsa_exception_fp_ieee_overflow 0
		.amdhsa_exception_fp_ieee_underflow 0
		.amdhsa_exception_fp_ieee_inexact 0
		.amdhsa_exception_int_div_zero 0
	.end_amdhsa_kernel
	.section	.text._ZN9rocsparseL23check_matrix_csr_deviceILj256ELj8E21rocsparse_complex_numIfEliEEvT3_S3_T2_PKT1_PKS4_PKS3_SB_21rocsparse_index_base_22rocsparse_matrix_type_20rocsparse_fill_mode_23rocsparse_storage_mode_P22rocsparse_data_status_,"axG",@progbits,_ZN9rocsparseL23check_matrix_csr_deviceILj256ELj8E21rocsparse_complex_numIfEliEEvT3_S3_T2_PKT1_PKS4_PKS3_SB_21rocsparse_index_base_22rocsparse_matrix_type_20rocsparse_fill_mode_23rocsparse_storage_mode_P22rocsparse_data_status_,comdat
.Lfunc_end47:
	.size	_ZN9rocsparseL23check_matrix_csr_deviceILj256ELj8E21rocsparse_complex_numIfEliEEvT3_S3_T2_PKT1_PKS4_PKS3_SB_21rocsparse_index_base_22rocsparse_matrix_type_20rocsparse_fill_mode_23rocsparse_storage_mode_P22rocsparse_data_status_, .Lfunc_end47-_ZN9rocsparseL23check_matrix_csr_deviceILj256ELj8E21rocsparse_complex_numIfEliEEvT3_S3_T2_PKT1_PKS4_PKS3_SB_21rocsparse_index_base_22rocsparse_matrix_type_20rocsparse_fill_mode_23rocsparse_storage_mode_P22rocsparse_data_status_
                                        ; -- End function
	.set _ZN9rocsparseL23check_matrix_csr_deviceILj256ELj8E21rocsparse_complex_numIfEliEEvT3_S3_T2_PKT1_PKS4_PKS3_SB_21rocsparse_index_base_22rocsparse_matrix_type_20rocsparse_fill_mode_23rocsparse_storage_mode_P22rocsparse_data_status_.num_vgpr, 18
	.set _ZN9rocsparseL23check_matrix_csr_deviceILj256ELj8E21rocsparse_complex_numIfEliEEvT3_S3_T2_PKT1_PKS4_PKS3_SB_21rocsparse_index_base_22rocsparse_matrix_type_20rocsparse_fill_mode_23rocsparse_storage_mode_P22rocsparse_data_status_.num_agpr, 0
	.set _ZN9rocsparseL23check_matrix_csr_deviceILj256ELj8E21rocsparse_complex_numIfEliEEvT3_S3_T2_PKT1_PKS4_PKS3_SB_21rocsparse_index_base_22rocsparse_matrix_type_20rocsparse_fill_mode_23rocsparse_storage_mode_P22rocsparse_data_status_.numbered_sgpr, 23
	.set _ZN9rocsparseL23check_matrix_csr_deviceILj256ELj8E21rocsparse_complex_numIfEliEEvT3_S3_T2_PKT1_PKS4_PKS3_SB_21rocsparse_index_base_22rocsparse_matrix_type_20rocsparse_fill_mode_23rocsparse_storage_mode_P22rocsparse_data_status_.num_named_barrier, 0
	.set _ZN9rocsparseL23check_matrix_csr_deviceILj256ELj8E21rocsparse_complex_numIfEliEEvT3_S3_T2_PKT1_PKS4_PKS3_SB_21rocsparse_index_base_22rocsparse_matrix_type_20rocsparse_fill_mode_23rocsparse_storage_mode_P22rocsparse_data_status_.private_seg_size, 0
	.set _ZN9rocsparseL23check_matrix_csr_deviceILj256ELj8E21rocsparse_complex_numIfEliEEvT3_S3_T2_PKT1_PKS4_PKS3_SB_21rocsparse_index_base_22rocsparse_matrix_type_20rocsparse_fill_mode_23rocsparse_storage_mode_P22rocsparse_data_status_.uses_vcc, 1
	.set _ZN9rocsparseL23check_matrix_csr_deviceILj256ELj8E21rocsparse_complex_numIfEliEEvT3_S3_T2_PKT1_PKS4_PKS3_SB_21rocsparse_index_base_22rocsparse_matrix_type_20rocsparse_fill_mode_23rocsparse_storage_mode_P22rocsparse_data_status_.uses_flat_scratch, 0
	.set _ZN9rocsparseL23check_matrix_csr_deviceILj256ELj8E21rocsparse_complex_numIfEliEEvT3_S3_T2_PKT1_PKS4_PKS3_SB_21rocsparse_index_base_22rocsparse_matrix_type_20rocsparse_fill_mode_23rocsparse_storage_mode_P22rocsparse_data_status_.has_dyn_sized_stack, 0
	.set _ZN9rocsparseL23check_matrix_csr_deviceILj256ELj8E21rocsparse_complex_numIfEliEEvT3_S3_T2_PKT1_PKS4_PKS3_SB_21rocsparse_index_base_22rocsparse_matrix_type_20rocsparse_fill_mode_23rocsparse_storage_mode_P22rocsparse_data_status_.has_recursion, 0
	.set _ZN9rocsparseL23check_matrix_csr_deviceILj256ELj8E21rocsparse_complex_numIfEliEEvT3_S3_T2_PKT1_PKS4_PKS3_SB_21rocsparse_index_base_22rocsparse_matrix_type_20rocsparse_fill_mode_23rocsparse_storage_mode_P22rocsparse_data_status_.has_indirect_call, 0
	.section	.AMDGPU.csdata,"",@progbits
; Kernel info:
; codeLenInByte = 1056
; TotalNumSgprs: 25
; NumVgprs: 18
; ScratchSize: 0
; MemoryBound: 0
; FloatMode: 240
; IeeeMode: 1
; LDSByteSize: 0 bytes/workgroup (compile time only)
; SGPRBlocks: 0
; VGPRBlocks: 1
; NumSGPRsForWavesPerEU: 25
; NumVGPRsForWavesPerEU: 18
; NamedBarCnt: 0
; Occupancy: 16
; WaveLimiterHint : 0
; COMPUTE_PGM_RSRC2:SCRATCH_EN: 0
; COMPUTE_PGM_RSRC2:USER_SGPR: 2
; COMPUTE_PGM_RSRC2:TRAP_HANDLER: 0
; COMPUTE_PGM_RSRC2:TGID_X_EN: 1
; COMPUTE_PGM_RSRC2:TGID_Y_EN: 0
; COMPUTE_PGM_RSRC2:TGID_Z_EN: 0
; COMPUTE_PGM_RSRC2:TIDIG_COMP_CNT: 0
	.section	.text._ZN9rocsparseL23check_matrix_csr_deviceILj256ELj16E21rocsparse_complex_numIfEliEEvT3_S3_T2_PKT1_PKS4_PKS3_SB_21rocsparse_index_base_22rocsparse_matrix_type_20rocsparse_fill_mode_23rocsparse_storage_mode_P22rocsparse_data_status_,"axG",@progbits,_ZN9rocsparseL23check_matrix_csr_deviceILj256ELj16E21rocsparse_complex_numIfEliEEvT3_S3_T2_PKT1_PKS4_PKS3_SB_21rocsparse_index_base_22rocsparse_matrix_type_20rocsparse_fill_mode_23rocsparse_storage_mode_P22rocsparse_data_status_,comdat
	.globl	_ZN9rocsparseL23check_matrix_csr_deviceILj256ELj16E21rocsparse_complex_numIfEliEEvT3_S3_T2_PKT1_PKS4_PKS3_SB_21rocsparse_index_base_22rocsparse_matrix_type_20rocsparse_fill_mode_23rocsparse_storage_mode_P22rocsparse_data_status_ ; -- Begin function _ZN9rocsparseL23check_matrix_csr_deviceILj256ELj16E21rocsparse_complex_numIfEliEEvT3_S3_T2_PKT1_PKS4_PKS3_SB_21rocsparse_index_base_22rocsparse_matrix_type_20rocsparse_fill_mode_23rocsparse_storage_mode_P22rocsparse_data_status_
	.p2align	8
	.type	_ZN9rocsparseL23check_matrix_csr_deviceILj256ELj16E21rocsparse_complex_numIfEliEEvT3_S3_T2_PKT1_PKS4_PKS3_SB_21rocsparse_index_base_22rocsparse_matrix_type_20rocsparse_fill_mode_23rocsparse_storage_mode_P22rocsparse_data_status_,@function
_ZN9rocsparseL23check_matrix_csr_deviceILj256ELj16E21rocsparse_complex_numIfEliEEvT3_S3_T2_PKT1_PKS4_PKS3_SB_21rocsparse_index_base_22rocsparse_matrix_type_20rocsparse_fill_mode_23rocsparse_storage_mode_P22rocsparse_data_status_: ; @_ZN9rocsparseL23check_matrix_csr_deviceILj256ELj16E21rocsparse_complex_numIfEliEEvT3_S3_T2_PKT1_PKS4_PKS3_SB_21rocsparse_index_base_22rocsparse_matrix_type_20rocsparse_fill_mode_23rocsparse_storage_mode_P22rocsparse_data_status_
; %bb.0:
	s_bfe_u32 s2, ttmp6, 0x4000c
	s_load_b64 s[12:13], s[0:1], 0x0
	s_add_co_i32 s2, s2, 1
	s_and_b32 s3, ttmp6, 15
	s_mul_i32 s2, ttmp9, s2
	s_getreg_b32 s4, hwreg(HW_REG_IB_STS2, 6, 4)
	s_add_co_i32 s3, s3, s2
	s_cmp_eq_u32 s4, 0
	s_cselect_b32 s2, ttmp9, s3
	s_delay_alu instid0(SALU_CYCLE_1) | instskip(SKIP_1) | instid1(VALU_DEP_1)
	v_lshl_or_b32 v1, s2, 8, v0
	s_mov_b32 s2, exec_lo
	v_lshrrev_b32_e32 v14, 4, v1
	s_wait_kmcnt 0x0
	s_delay_alu instid0(VALU_DEP_1)
	v_cmpx_gt_i32_e64 s12, v14
	s_cbranch_execz .LBB48_31
; %bb.1:
	s_load_b64 s[2:3], s[0:1], 0x18
	v_dual_lshlrev_b32 v1, 3, v14 :: v_dual_mov_b32 v15, 3
	s_wait_kmcnt 0x0
	global_load_b128 v[6:9], v1, s[2:3]
	s_wait_xcnt 0x0
	s_load_b64 s[2:3], s[2:3], 0x0
	s_wait_loadcnt 0x0
	s_wait_kmcnt 0x0
	v_sub_nc_u64_e64 v[2:3], v[8:9], s[2:3]
	v_sub_nc_u64_e64 v[4:5], v[6:7], s[2:3]
	v_cmp_lt_i64_e64 s2, v[8:9], v[6:7]
	s_delay_alu instid0(VALU_DEP_3) | instskip(NEXT) | instid1(VALU_DEP_3)
	v_cmp_gt_i64_e32 vcc_lo, 0, v[2:3]
	v_cmp_lt_i64_e64 s3, -1, v[4:5]
	s_or_b32 s2, vcc_lo, s2
	s_delay_alu instid0(SALU_CYCLE_1) | instskip(SKIP_2) | instid1(SALU_CYCLE_1)
	s_xor_b32 s4, s2, -1
	s_mov_b32 s2, -1
	s_and_b32 s3, s3, s4
	s_and_saveexec_b32 s12, s3
	s_cbranch_execz .LBB48_29
; %bb.2:
	v_dual_mov_b32 v1, 0 :: v_dual_bitop2_b32 v0, 15, v0 bitop3:0x40
	v_mov_b32_e32 v15, 3
	s_mov_b32 s2, 0
	s_mov_b32 s14, exec_lo
	s_delay_alu instid0(VALU_DEP_2) | instskip(NEXT) | instid1(VALU_DEP_1)
	v_add_nc_u64_e32 v[0:1], v[4:5], v[0:1]
	v_cmpx_lt_u64_e64 v[0:1], v[2:3]
	s_cbranch_execz .LBB48_28
; %bb.3:
	s_clause 0x1
	s_load_b256 s[4:11], s[0:1], 0x20
	s_load_b64 s[2:3], s[0:1], 0x10
	v_lshl_add_u64 v[8:9], v[0:1], 2, -4
	s_wait_kmcnt 0x0
	s_cmp_lg_u32 s9, 0
	v_lshl_add_u64 v[10:11], v[0:1], 3, s[2:3]
	s_delay_alu instid0(VALU_DEP_2)
	v_add_nc_u64_e32 v[6:7], s[6:7], v[8:9]
	v_add_nc_u64_e32 v[8:9], s[4:5], v[8:9]
	s_cselect_b32 s9, -1, 0
	s_cmp_lg_u32 s10, 0
	v_add_nc_u64_e32 v[10:11], 4, v[10:11]
	s_cselect_b32 s4, -1, 0
	s_cmp_lg_u32 s11, 0
	s_mov_b32 s5, 0
	s_cselect_b32 s6, -1, 0
                                        ; implicit-def: $sgpr7
                                        ; implicit-def: $sgpr10
                                        ; implicit-def: $sgpr11
	s_branch .LBB48_10
.LBB48_4:                               ;   in Loop: Header=BB48_10 Depth=1
	s_or_b32 exec_lo, exec_lo, s3
	s_delay_alu instid0(SALU_CYCLE_1)
	s_or_not1_b32 s22, s2, exec_lo
	s_or_not1_b32 s2, s19, exec_lo
.LBB48_5:                               ;   in Loop: Header=BB48_10 Depth=1
	s_or_b32 exec_lo, exec_lo, s20
	s_delay_alu instid0(SALU_CYCLE_1)
	s_or_not1_b32 s3, s22, exec_lo
	s_or_not1_b32 s2, s2, exec_lo
.LBB48_6:                               ;   in Loop: Header=BB48_10 Depth=1
	s_or_b32 exec_lo, exec_lo, s18
	s_delay_alu instid0(SALU_CYCLE_1)
	s_or_not1_b32 s18, s3, exec_lo
	s_or_not1_b32 s3, s2, exec_lo
.LBB48_7:                               ;   in Loop: Header=BB48_10 Depth=1
	s_or_b32 exec_lo, exec_lo, s17
	s_delay_alu instid0(SALU_CYCLE_1)
	s_or_not1_b32 s17, s18, exec_lo
	s_or_not1_b32 s2, s3, exec_lo
.LBB48_8:                               ;   in Loop: Header=BB48_10 Depth=1
	s_or_b32 exec_lo, exec_lo, s16
	s_delay_alu instid0(SALU_CYCLE_1)
	s_and_not1_b32 s3, s11, exec_lo
	s_and_b32 s11, s17, exec_lo
	s_and_not1_b32 s10, s10, exec_lo
	s_and_b32 s2, s2, exec_lo
	s_or_b32 s11, s3, s11
	s_or_b32 s10, s10, s2
.LBB48_9:                               ;   in Loop: Header=BB48_10 Depth=1
	s_or_b32 exec_lo, exec_lo, s15
	s_delay_alu instid0(SALU_CYCLE_1) | instskip(NEXT) | instid1(SALU_CYCLE_1)
	s_and_b32 s2, exec_lo, s10
	s_or_b32 s5, s2, s5
	s_and_not1_b32 s2, s7, exec_lo
	s_and_b32 s3, s11, exec_lo
	s_delay_alu instid0(SALU_CYCLE_1)
	s_or_b32 s7, s2, s3
	s_and_not1_b32 exec_lo, exec_lo, s5
	s_cbranch_execz .LBB48_27
.LBB48_10:                              ; =>This Inner Loop Header: Depth=1
	global_load_b32 v16, v[8:9], off offset:4
	v_mov_b32_e32 v15, 4
	s_or_b32 s11, s11, exec_lo
	s_or_b32 s10, s10, exec_lo
	s_wait_loadcnt 0x0
	v_subrev_nc_u32_e32 v17, s8, v16
	s_delay_alu instid0(VALU_DEP_1) | instskip(SKIP_2) | instid1(SALU_CYCLE_1)
	v_cmp_lt_i32_e32 vcc_lo, -1, v17
	v_cmp_gt_i32_e64 s2, s13, v17
	s_and_b32 s2, vcc_lo, s2
	s_and_saveexec_b32 s15, s2
	s_cbranch_execz .LBB48_9
; %bb.11:                               ;   in Loop: Header=BB48_10 Depth=1
	v_cmp_le_i64_e64 s19, v[0:1], v[4:5]
	v_mov_b32_e32 v15, 4
	s_mov_b32 s16, exec_lo
	s_mov_b32 s3, s19
	v_cmpx_gt_i64_e64 v[0:1], v[4:5]
	s_cbranch_execz .LBB48_13
; %bb.12:                               ;   in Loop: Header=BB48_10 Depth=1
	global_load_b64 v[12:13], v[6:7], off
	s_wait_loadcnt 0x0
	v_subrev_nc_u32_e32 v15, s8, v12
	v_cmp_ne_u32_e64 s3, v13, v12
	s_delay_alu instid0(VALU_DEP_2) | instskip(SKIP_3) | instid1(SALU_CYCLE_1)
	v_cmp_lt_i32_e32 vcc_lo, -1, v15
	v_cmp_gt_i32_e64 s2, s13, v15
	v_mov_b32_e32 v15, 5
	s_and_b32 s2, vcc_lo, s2
	s_xor_b32 s2, s2, -1
	s_delay_alu instid0(SALU_CYCLE_1) | instskip(SKIP_2) | instid1(SALU_CYCLE_1)
	s_or_b32 s2, s3, s2
	s_and_not1_b32 s3, s19, exec_lo
	s_and_b32 s2, s2, exec_lo
	s_or_b32 s3, s3, s2
.LBB48_13:                              ;   in Loop: Header=BB48_10 Depth=1
	s_or_b32 exec_lo, exec_lo, s16
	s_mov_b32 s2, -1
	s_mov_b32 s17, -1
	s_and_saveexec_b32 s16, s3
	s_cbranch_execz .LBB48_8
; %bb.14:                               ;   in Loop: Header=BB48_10 Depth=1
	global_load_b64 v[12:13], v[10:11], off offset:-4
	v_mov_b32_e32 v15, 1
	s_mov_b32 s3, -1
	s_mov_b32 s18, -1
	s_wait_loadcnt 0x0
	v_cmp_neq_f32_e32 vcc_lo, 0x7f800000, v12
	v_cmp_neq_f32_e64 s2, 0x7f800000, v13
	s_and_b32 s2, vcc_lo, s2
	s_delay_alu instid0(SALU_CYCLE_1)
	s_and_saveexec_b32 s17, s2
	s_cbranch_execz .LBB48_7
; %bb.15:                               ;   in Loop: Header=BB48_10 Depth=1
	v_mov_b32_e32 v15, 2
	s_mov_b32 s2, -1
	s_mov_b32 s18, exec_lo
	v_cmpx_o_f32_e32 v12, v13
	s_cbranch_execz .LBB48_6
; %bb.16:                               ;   in Loop: Header=BB48_10 Depth=1
	s_and_b32 vcc_lo, exec_lo, s9
	s_cbranch_vccz .LBB48_19
; %bb.17:                               ;   in Loop: Header=BB48_10 Depth=1
	s_and_b32 vcc_lo, exec_lo, s4
	s_cbranch_vccz .LBB48_20
; %bb.18:                               ;   in Loop: Header=BB48_10 Depth=1
	v_cmp_le_i32_e32 vcc_lo, v14, v17
	s_mov_b32 s3, 7
	s_and_b32 s21, vcc_lo, exec_lo
	s_cbranch_execz .LBB48_21
	s_branch .LBB48_22
.LBB48_19:                              ;   in Loop: Header=BB48_10 Depth=1
	s_mov_b32 s3, 2
	s_mov_b32 s21, -1
	s_branch .LBB48_22
.LBB48_20:                              ;   in Loop: Header=BB48_10 Depth=1
	s_mov_b32 s21, 0
	s_mov_b32 s3, 2
.LBB48_21:                              ;   in Loop: Header=BB48_10 Depth=1
	v_cmp_ge_i32_e32 vcc_lo, v14, v17
	s_and_not1_b32 s20, s21, exec_lo
	s_mov_b32 s3, 7
	s_and_b32 s21, vcc_lo, exec_lo
	s_delay_alu instid0(SALU_CYCLE_1)
	s_or_b32 s21, s20, s21
.LBB48_22:                              ;   in Loop: Header=BB48_10 Depth=1
	v_mov_b32_e32 v15, s3
	s_mov_b32 s22, -1
	s_and_saveexec_b32 s20, s21
	s_cbranch_execz .LBB48_5
; %bb.23:                               ;   in Loop: Header=BB48_10 Depth=1
	v_mov_b32_e32 v15, s3
	s_nor_b32 s2, s6, s19
	s_mov_b32 s19, -1
	s_and_saveexec_b32 s21, s2
	s_cbranch_execz .LBB48_25
; %bb.24:                               ;   in Loop: Header=BB48_10 Depth=1
	global_load_b32 v12, v[8:9], off
	v_mov_b32_e32 v15, 6
	s_wait_loadcnt 0x0
	v_subrev_nc_u32_e32 v13, s8, v12
	v_cmp_gt_i32_e64 s3, v16, v12
	s_delay_alu instid0(VALU_DEP_2) | instskip(SKIP_2) | instid1(SALU_CYCLE_1)
	v_cmp_lt_i32_e32 vcc_lo, -1, v13
	v_cmp_gt_i32_e64 s2, s13, v13
	s_and_b32 s2, vcc_lo, s2
	s_xor_b32 s2, s2, -1
	s_delay_alu instid0(SALU_CYCLE_1) | instskip(NEXT) | instid1(SALU_CYCLE_1)
	s_or_b32 s2, s3, s2
	s_or_not1_b32 s22, s2, exec_lo
.LBB48_25:                              ;   in Loop: Header=BB48_10 Depth=1
	s_or_b32 exec_lo, exec_lo, s21
	s_mov_b32 s2, -1
	s_and_saveexec_b32 s3, s22
	s_cbranch_execz .LBB48_4
; %bb.26:                               ;   in Loop: Header=BB48_10 Depth=1
	v_add_nc_u64_e32 v[0:1], 16, v[0:1]
	v_add_nc_u64_e32 v[6:7], 64, v[6:7]
	;; [unrolled: 1-line block ×4, first 2 shown]
	s_xor_b32 s2, exec_lo, -1
	s_delay_alu instid0(VALU_DEP_4)
	v_cmp_ge_i64_e32 vcc_lo, v[0:1], v[2:3]
	s_or_not1_b32 s19, vcc_lo, exec_lo
	s_branch .LBB48_4
.LBB48_27:
	s_or_b32 exec_lo, exec_lo, s5
	s_delay_alu instid0(SALU_CYCLE_1)
	s_and_b32 s2, s7, exec_lo
.LBB48_28:
	s_or_b32 exec_lo, exec_lo, s14
	s_delay_alu instid0(SALU_CYCLE_1)
	s_or_not1_b32 s2, s2, exec_lo
.LBB48_29:
	s_or_b32 exec_lo, exec_lo, s12
	s_delay_alu instid0(SALU_CYCLE_1)
	s_and_b32 exec_lo, exec_lo, s2
	s_cbranch_execz .LBB48_31
; %bb.30:
	s_load_b64 s[0:1], s[0:1], 0x40
	v_mov_b32_e32 v0, 0
	s_wait_kmcnt 0x0
	global_store_b32 v0, v15, s[0:1]
.LBB48_31:
	s_endpgm
	.section	.rodata,"a",@progbits
	.p2align	6, 0x0
	.amdhsa_kernel _ZN9rocsparseL23check_matrix_csr_deviceILj256ELj16E21rocsparse_complex_numIfEliEEvT3_S3_T2_PKT1_PKS4_PKS3_SB_21rocsparse_index_base_22rocsparse_matrix_type_20rocsparse_fill_mode_23rocsparse_storage_mode_P22rocsparse_data_status_
		.amdhsa_group_segment_fixed_size 0
		.amdhsa_private_segment_fixed_size 0
		.amdhsa_kernarg_size 72
		.amdhsa_user_sgpr_count 2
		.amdhsa_user_sgpr_dispatch_ptr 0
		.amdhsa_user_sgpr_queue_ptr 0
		.amdhsa_user_sgpr_kernarg_segment_ptr 1
		.amdhsa_user_sgpr_dispatch_id 0
		.amdhsa_user_sgpr_kernarg_preload_length 0
		.amdhsa_user_sgpr_kernarg_preload_offset 0
		.amdhsa_user_sgpr_private_segment_size 0
		.amdhsa_wavefront_size32 1
		.amdhsa_uses_dynamic_stack 0
		.amdhsa_enable_private_segment 0
		.amdhsa_system_sgpr_workgroup_id_x 1
		.amdhsa_system_sgpr_workgroup_id_y 0
		.amdhsa_system_sgpr_workgroup_id_z 0
		.amdhsa_system_sgpr_workgroup_info 0
		.amdhsa_system_vgpr_workitem_id 0
		.amdhsa_next_free_vgpr 18
		.amdhsa_next_free_sgpr 23
		.amdhsa_named_barrier_count 0
		.amdhsa_reserve_vcc 1
		.amdhsa_float_round_mode_32 0
		.amdhsa_float_round_mode_16_64 0
		.amdhsa_float_denorm_mode_32 3
		.amdhsa_float_denorm_mode_16_64 3
		.amdhsa_fp16_overflow 0
		.amdhsa_memory_ordered 1
		.amdhsa_forward_progress 1
		.amdhsa_inst_pref_size 9
		.amdhsa_round_robin_scheduling 0
		.amdhsa_exception_fp_ieee_invalid_op 0
		.amdhsa_exception_fp_denorm_src 0
		.amdhsa_exception_fp_ieee_div_zero 0
		.amdhsa_exception_fp_ieee_overflow 0
		.amdhsa_exception_fp_ieee_underflow 0
		.amdhsa_exception_fp_ieee_inexact 0
		.amdhsa_exception_int_div_zero 0
	.end_amdhsa_kernel
	.section	.text._ZN9rocsparseL23check_matrix_csr_deviceILj256ELj16E21rocsparse_complex_numIfEliEEvT3_S3_T2_PKT1_PKS4_PKS3_SB_21rocsparse_index_base_22rocsparse_matrix_type_20rocsparse_fill_mode_23rocsparse_storage_mode_P22rocsparse_data_status_,"axG",@progbits,_ZN9rocsparseL23check_matrix_csr_deviceILj256ELj16E21rocsparse_complex_numIfEliEEvT3_S3_T2_PKT1_PKS4_PKS3_SB_21rocsparse_index_base_22rocsparse_matrix_type_20rocsparse_fill_mode_23rocsparse_storage_mode_P22rocsparse_data_status_,comdat
.Lfunc_end48:
	.size	_ZN9rocsparseL23check_matrix_csr_deviceILj256ELj16E21rocsparse_complex_numIfEliEEvT3_S3_T2_PKT1_PKS4_PKS3_SB_21rocsparse_index_base_22rocsparse_matrix_type_20rocsparse_fill_mode_23rocsparse_storage_mode_P22rocsparse_data_status_, .Lfunc_end48-_ZN9rocsparseL23check_matrix_csr_deviceILj256ELj16E21rocsparse_complex_numIfEliEEvT3_S3_T2_PKT1_PKS4_PKS3_SB_21rocsparse_index_base_22rocsparse_matrix_type_20rocsparse_fill_mode_23rocsparse_storage_mode_P22rocsparse_data_status_
                                        ; -- End function
	.set _ZN9rocsparseL23check_matrix_csr_deviceILj256ELj16E21rocsparse_complex_numIfEliEEvT3_S3_T2_PKT1_PKS4_PKS3_SB_21rocsparse_index_base_22rocsparse_matrix_type_20rocsparse_fill_mode_23rocsparse_storage_mode_P22rocsparse_data_status_.num_vgpr, 18
	.set _ZN9rocsparseL23check_matrix_csr_deviceILj256ELj16E21rocsparse_complex_numIfEliEEvT3_S3_T2_PKT1_PKS4_PKS3_SB_21rocsparse_index_base_22rocsparse_matrix_type_20rocsparse_fill_mode_23rocsparse_storage_mode_P22rocsparse_data_status_.num_agpr, 0
	.set _ZN9rocsparseL23check_matrix_csr_deviceILj256ELj16E21rocsparse_complex_numIfEliEEvT3_S3_T2_PKT1_PKS4_PKS3_SB_21rocsparse_index_base_22rocsparse_matrix_type_20rocsparse_fill_mode_23rocsparse_storage_mode_P22rocsparse_data_status_.numbered_sgpr, 23
	.set _ZN9rocsparseL23check_matrix_csr_deviceILj256ELj16E21rocsparse_complex_numIfEliEEvT3_S3_T2_PKT1_PKS4_PKS3_SB_21rocsparse_index_base_22rocsparse_matrix_type_20rocsparse_fill_mode_23rocsparse_storage_mode_P22rocsparse_data_status_.num_named_barrier, 0
	.set _ZN9rocsparseL23check_matrix_csr_deviceILj256ELj16E21rocsparse_complex_numIfEliEEvT3_S3_T2_PKT1_PKS4_PKS3_SB_21rocsparse_index_base_22rocsparse_matrix_type_20rocsparse_fill_mode_23rocsparse_storage_mode_P22rocsparse_data_status_.private_seg_size, 0
	.set _ZN9rocsparseL23check_matrix_csr_deviceILj256ELj16E21rocsparse_complex_numIfEliEEvT3_S3_T2_PKT1_PKS4_PKS3_SB_21rocsparse_index_base_22rocsparse_matrix_type_20rocsparse_fill_mode_23rocsparse_storage_mode_P22rocsparse_data_status_.uses_vcc, 1
	.set _ZN9rocsparseL23check_matrix_csr_deviceILj256ELj16E21rocsparse_complex_numIfEliEEvT3_S3_T2_PKT1_PKS4_PKS3_SB_21rocsparse_index_base_22rocsparse_matrix_type_20rocsparse_fill_mode_23rocsparse_storage_mode_P22rocsparse_data_status_.uses_flat_scratch, 0
	.set _ZN9rocsparseL23check_matrix_csr_deviceILj256ELj16E21rocsparse_complex_numIfEliEEvT3_S3_T2_PKT1_PKS4_PKS3_SB_21rocsparse_index_base_22rocsparse_matrix_type_20rocsparse_fill_mode_23rocsparse_storage_mode_P22rocsparse_data_status_.has_dyn_sized_stack, 0
	.set _ZN9rocsparseL23check_matrix_csr_deviceILj256ELj16E21rocsparse_complex_numIfEliEEvT3_S3_T2_PKT1_PKS4_PKS3_SB_21rocsparse_index_base_22rocsparse_matrix_type_20rocsparse_fill_mode_23rocsparse_storage_mode_P22rocsparse_data_status_.has_recursion, 0
	.set _ZN9rocsparseL23check_matrix_csr_deviceILj256ELj16E21rocsparse_complex_numIfEliEEvT3_S3_T2_PKT1_PKS4_PKS3_SB_21rocsparse_index_base_22rocsparse_matrix_type_20rocsparse_fill_mode_23rocsparse_storage_mode_P22rocsparse_data_status_.has_indirect_call, 0
	.section	.AMDGPU.csdata,"",@progbits
; Kernel info:
; codeLenInByte = 1060
; TotalNumSgprs: 25
; NumVgprs: 18
; ScratchSize: 0
; MemoryBound: 0
; FloatMode: 240
; IeeeMode: 1
; LDSByteSize: 0 bytes/workgroup (compile time only)
; SGPRBlocks: 0
; VGPRBlocks: 1
; NumSGPRsForWavesPerEU: 25
; NumVGPRsForWavesPerEU: 18
; NamedBarCnt: 0
; Occupancy: 16
; WaveLimiterHint : 0
; COMPUTE_PGM_RSRC2:SCRATCH_EN: 0
; COMPUTE_PGM_RSRC2:USER_SGPR: 2
; COMPUTE_PGM_RSRC2:TRAP_HANDLER: 0
; COMPUTE_PGM_RSRC2:TGID_X_EN: 1
; COMPUTE_PGM_RSRC2:TGID_Y_EN: 0
; COMPUTE_PGM_RSRC2:TGID_Z_EN: 0
; COMPUTE_PGM_RSRC2:TIDIG_COMP_CNT: 0
	.section	.text._ZN9rocsparseL23check_matrix_csr_deviceILj256ELj32E21rocsparse_complex_numIfEliEEvT3_S3_T2_PKT1_PKS4_PKS3_SB_21rocsparse_index_base_22rocsparse_matrix_type_20rocsparse_fill_mode_23rocsparse_storage_mode_P22rocsparse_data_status_,"axG",@progbits,_ZN9rocsparseL23check_matrix_csr_deviceILj256ELj32E21rocsparse_complex_numIfEliEEvT3_S3_T2_PKT1_PKS4_PKS3_SB_21rocsparse_index_base_22rocsparse_matrix_type_20rocsparse_fill_mode_23rocsparse_storage_mode_P22rocsparse_data_status_,comdat
	.globl	_ZN9rocsparseL23check_matrix_csr_deviceILj256ELj32E21rocsparse_complex_numIfEliEEvT3_S3_T2_PKT1_PKS4_PKS3_SB_21rocsparse_index_base_22rocsparse_matrix_type_20rocsparse_fill_mode_23rocsparse_storage_mode_P22rocsparse_data_status_ ; -- Begin function _ZN9rocsparseL23check_matrix_csr_deviceILj256ELj32E21rocsparse_complex_numIfEliEEvT3_S3_T2_PKT1_PKS4_PKS3_SB_21rocsparse_index_base_22rocsparse_matrix_type_20rocsparse_fill_mode_23rocsparse_storage_mode_P22rocsparse_data_status_
	.p2align	8
	.type	_ZN9rocsparseL23check_matrix_csr_deviceILj256ELj32E21rocsparse_complex_numIfEliEEvT3_S3_T2_PKT1_PKS4_PKS3_SB_21rocsparse_index_base_22rocsparse_matrix_type_20rocsparse_fill_mode_23rocsparse_storage_mode_P22rocsparse_data_status_,@function
_ZN9rocsparseL23check_matrix_csr_deviceILj256ELj32E21rocsparse_complex_numIfEliEEvT3_S3_T2_PKT1_PKS4_PKS3_SB_21rocsparse_index_base_22rocsparse_matrix_type_20rocsparse_fill_mode_23rocsparse_storage_mode_P22rocsparse_data_status_: ; @_ZN9rocsparseL23check_matrix_csr_deviceILj256ELj32E21rocsparse_complex_numIfEliEEvT3_S3_T2_PKT1_PKS4_PKS3_SB_21rocsparse_index_base_22rocsparse_matrix_type_20rocsparse_fill_mode_23rocsparse_storage_mode_P22rocsparse_data_status_
; %bb.0:
	s_bfe_u32 s2, ttmp6, 0x4000c
	s_load_b64 s[12:13], s[0:1], 0x0
	s_add_co_i32 s2, s2, 1
	s_and_b32 s3, ttmp6, 15
	s_mul_i32 s2, ttmp9, s2
	s_getreg_b32 s4, hwreg(HW_REG_IB_STS2, 6, 4)
	s_add_co_i32 s3, s3, s2
	s_cmp_eq_u32 s4, 0
	s_cselect_b32 s2, ttmp9, s3
	s_delay_alu instid0(SALU_CYCLE_1) | instskip(SKIP_1) | instid1(VALU_DEP_1)
	v_lshl_or_b32 v1, s2, 8, v0
	s_mov_b32 s2, exec_lo
	v_lshrrev_b32_e32 v14, 5, v1
	s_wait_kmcnt 0x0
	s_delay_alu instid0(VALU_DEP_1)
	v_cmpx_gt_i32_e64 s12, v14
	s_cbranch_execz .LBB49_31
; %bb.1:
	s_load_b64 s[2:3], s[0:1], 0x18
	v_dual_lshlrev_b32 v1, 3, v14 :: v_dual_mov_b32 v15, 3
	s_wait_kmcnt 0x0
	global_load_b128 v[6:9], v1, s[2:3]
	s_wait_xcnt 0x0
	s_load_b64 s[2:3], s[2:3], 0x0
	s_wait_loadcnt 0x0
	s_wait_kmcnt 0x0
	v_sub_nc_u64_e64 v[2:3], v[8:9], s[2:3]
	v_sub_nc_u64_e64 v[4:5], v[6:7], s[2:3]
	v_cmp_lt_i64_e64 s2, v[8:9], v[6:7]
	s_delay_alu instid0(VALU_DEP_3) | instskip(NEXT) | instid1(VALU_DEP_3)
	v_cmp_gt_i64_e32 vcc_lo, 0, v[2:3]
	v_cmp_lt_i64_e64 s3, -1, v[4:5]
	s_or_b32 s2, vcc_lo, s2
	s_delay_alu instid0(SALU_CYCLE_1) | instskip(SKIP_2) | instid1(SALU_CYCLE_1)
	s_xor_b32 s4, s2, -1
	s_mov_b32 s2, -1
	s_and_b32 s3, s3, s4
	s_and_saveexec_b32 s12, s3
	s_cbranch_execz .LBB49_29
; %bb.2:
	v_dual_mov_b32 v1, 0 :: v_dual_bitop2_b32 v0, 31, v0 bitop3:0x40
	v_mov_b32_e32 v15, 3
	s_mov_b32 s2, 0
	s_mov_b32 s14, exec_lo
	s_delay_alu instid0(VALU_DEP_2) | instskip(NEXT) | instid1(VALU_DEP_1)
	v_add_nc_u64_e32 v[0:1], v[4:5], v[0:1]
	v_cmpx_lt_u64_e64 v[0:1], v[2:3]
	s_cbranch_execz .LBB49_28
; %bb.3:
	s_clause 0x1
	s_load_b256 s[4:11], s[0:1], 0x20
	s_load_b64 s[2:3], s[0:1], 0x10
	v_lshl_add_u64 v[8:9], v[0:1], 2, -4
	s_wait_kmcnt 0x0
	s_cmp_lg_u32 s9, 0
	v_lshl_add_u64 v[10:11], v[0:1], 3, s[2:3]
	s_delay_alu instid0(VALU_DEP_2)
	v_add_nc_u64_e32 v[6:7], s[6:7], v[8:9]
	v_add_nc_u64_e32 v[8:9], s[4:5], v[8:9]
	s_cselect_b32 s9, -1, 0
	s_cmp_lg_u32 s10, 0
	v_add_nc_u64_e32 v[10:11], 4, v[10:11]
	s_cselect_b32 s4, -1, 0
	s_cmp_lg_u32 s11, 0
	s_mov_b32 s5, 0
	s_cselect_b32 s6, -1, 0
                                        ; implicit-def: $sgpr7
                                        ; implicit-def: $sgpr10
                                        ; implicit-def: $sgpr11
	s_branch .LBB49_10
.LBB49_4:                               ;   in Loop: Header=BB49_10 Depth=1
	s_or_b32 exec_lo, exec_lo, s3
	s_delay_alu instid0(SALU_CYCLE_1)
	s_or_not1_b32 s22, s2, exec_lo
	s_or_not1_b32 s2, s19, exec_lo
.LBB49_5:                               ;   in Loop: Header=BB49_10 Depth=1
	s_or_b32 exec_lo, exec_lo, s20
	s_delay_alu instid0(SALU_CYCLE_1)
	s_or_not1_b32 s3, s22, exec_lo
	s_or_not1_b32 s2, s2, exec_lo
.LBB49_6:                               ;   in Loop: Header=BB49_10 Depth=1
	s_or_b32 exec_lo, exec_lo, s18
	s_delay_alu instid0(SALU_CYCLE_1)
	s_or_not1_b32 s18, s3, exec_lo
	s_or_not1_b32 s3, s2, exec_lo
.LBB49_7:                               ;   in Loop: Header=BB49_10 Depth=1
	s_or_b32 exec_lo, exec_lo, s17
	s_delay_alu instid0(SALU_CYCLE_1)
	s_or_not1_b32 s17, s18, exec_lo
	s_or_not1_b32 s2, s3, exec_lo
.LBB49_8:                               ;   in Loop: Header=BB49_10 Depth=1
	s_or_b32 exec_lo, exec_lo, s16
	s_delay_alu instid0(SALU_CYCLE_1)
	s_and_not1_b32 s3, s11, exec_lo
	s_and_b32 s11, s17, exec_lo
	s_and_not1_b32 s10, s10, exec_lo
	s_and_b32 s2, s2, exec_lo
	s_or_b32 s11, s3, s11
	s_or_b32 s10, s10, s2
.LBB49_9:                               ;   in Loop: Header=BB49_10 Depth=1
	s_or_b32 exec_lo, exec_lo, s15
	s_delay_alu instid0(SALU_CYCLE_1) | instskip(NEXT) | instid1(SALU_CYCLE_1)
	s_and_b32 s2, exec_lo, s10
	s_or_b32 s5, s2, s5
	s_and_not1_b32 s2, s7, exec_lo
	s_and_b32 s3, s11, exec_lo
	s_delay_alu instid0(SALU_CYCLE_1)
	s_or_b32 s7, s2, s3
	s_and_not1_b32 exec_lo, exec_lo, s5
	s_cbranch_execz .LBB49_27
.LBB49_10:                              ; =>This Inner Loop Header: Depth=1
	global_load_b32 v16, v[8:9], off offset:4
	v_mov_b32_e32 v15, 4
	s_or_b32 s11, s11, exec_lo
	s_or_b32 s10, s10, exec_lo
	s_wait_loadcnt 0x0
	v_subrev_nc_u32_e32 v17, s8, v16
	s_delay_alu instid0(VALU_DEP_1) | instskip(SKIP_2) | instid1(SALU_CYCLE_1)
	v_cmp_lt_i32_e32 vcc_lo, -1, v17
	v_cmp_gt_i32_e64 s2, s13, v17
	s_and_b32 s2, vcc_lo, s2
	s_and_saveexec_b32 s15, s2
	s_cbranch_execz .LBB49_9
; %bb.11:                               ;   in Loop: Header=BB49_10 Depth=1
	v_cmp_le_i64_e64 s19, v[0:1], v[4:5]
	v_mov_b32_e32 v15, 4
	s_mov_b32 s16, exec_lo
	s_mov_b32 s3, s19
	v_cmpx_gt_i64_e64 v[0:1], v[4:5]
	s_cbranch_execz .LBB49_13
; %bb.12:                               ;   in Loop: Header=BB49_10 Depth=1
	global_load_b64 v[12:13], v[6:7], off
	s_wait_loadcnt 0x0
	v_subrev_nc_u32_e32 v15, s8, v12
	v_cmp_ne_u32_e64 s3, v13, v12
	s_delay_alu instid0(VALU_DEP_2) | instskip(SKIP_3) | instid1(SALU_CYCLE_1)
	v_cmp_lt_i32_e32 vcc_lo, -1, v15
	v_cmp_gt_i32_e64 s2, s13, v15
	v_mov_b32_e32 v15, 5
	s_and_b32 s2, vcc_lo, s2
	s_xor_b32 s2, s2, -1
	s_delay_alu instid0(SALU_CYCLE_1) | instskip(SKIP_2) | instid1(SALU_CYCLE_1)
	s_or_b32 s2, s3, s2
	s_and_not1_b32 s3, s19, exec_lo
	s_and_b32 s2, s2, exec_lo
	s_or_b32 s3, s3, s2
.LBB49_13:                              ;   in Loop: Header=BB49_10 Depth=1
	s_or_b32 exec_lo, exec_lo, s16
	s_mov_b32 s2, -1
	s_mov_b32 s17, -1
	s_and_saveexec_b32 s16, s3
	s_cbranch_execz .LBB49_8
; %bb.14:                               ;   in Loop: Header=BB49_10 Depth=1
	global_load_b64 v[12:13], v[10:11], off offset:-4
	v_mov_b32_e32 v15, 1
	s_mov_b32 s3, -1
	s_mov_b32 s18, -1
	s_wait_loadcnt 0x0
	v_cmp_neq_f32_e32 vcc_lo, 0x7f800000, v12
	v_cmp_neq_f32_e64 s2, 0x7f800000, v13
	s_and_b32 s2, vcc_lo, s2
	s_delay_alu instid0(SALU_CYCLE_1)
	s_and_saveexec_b32 s17, s2
	s_cbranch_execz .LBB49_7
; %bb.15:                               ;   in Loop: Header=BB49_10 Depth=1
	v_mov_b32_e32 v15, 2
	s_mov_b32 s2, -1
	s_mov_b32 s18, exec_lo
	v_cmpx_o_f32_e32 v12, v13
	s_cbranch_execz .LBB49_6
; %bb.16:                               ;   in Loop: Header=BB49_10 Depth=1
	s_and_b32 vcc_lo, exec_lo, s9
	s_cbranch_vccz .LBB49_19
; %bb.17:                               ;   in Loop: Header=BB49_10 Depth=1
	s_and_b32 vcc_lo, exec_lo, s4
	s_cbranch_vccz .LBB49_20
; %bb.18:                               ;   in Loop: Header=BB49_10 Depth=1
	v_cmp_le_i32_e32 vcc_lo, v14, v17
	s_mov_b32 s3, 7
	s_and_b32 s21, vcc_lo, exec_lo
	s_cbranch_execz .LBB49_21
	s_branch .LBB49_22
.LBB49_19:                              ;   in Loop: Header=BB49_10 Depth=1
	s_mov_b32 s3, 2
	s_mov_b32 s21, -1
	s_branch .LBB49_22
.LBB49_20:                              ;   in Loop: Header=BB49_10 Depth=1
	s_mov_b32 s21, 0
	s_mov_b32 s3, 2
.LBB49_21:                              ;   in Loop: Header=BB49_10 Depth=1
	v_cmp_ge_i32_e32 vcc_lo, v14, v17
	s_and_not1_b32 s20, s21, exec_lo
	s_mov_b32 s3, 7
	s_and_b32 s21, vcc_lo, exec_lo
	s_delay_alu instid0(SALU_CYCLE_1)
	s_or_b32 s21, s20, s21
.LBB49_22:                              ;   in Loop: Header=BB49_10 Depth=1
	v_mov_b32_e32 v15, s3
	s_mov_b32 s22, -1
	s_and_saveexec_b32 s20, s21
	s_cbranch_execz .LBB49_5
; %bb.23:                               ;   in Loop: Header=BB49_10 Depth=1
	v_mov_b32_e32 v15, s3
	s_nor_b32 s2, s6, s19
	s_mov_b32 s19, -1
	s_and_saveexec_b32 s21, s2
	s_cbranch_execz .LBB49_25
; %bb.24:                               ;   in Loop: Header=BB49_10 Depth=1
	global_load_b32 v12, v[8:9], off
	v_mov_b32_e32 v15, 6
	s_wait_loadcnt 0x0
	v_subrev_nc_u32_e32 v13, s8, v12
	v_cmp_gt_i32_e64 s3, v16, v12
	s_delay_alu instid0(VALU_DEP_2) | instskip(SKIP_2) | instid1(SALU_CYCLE_1)
	v_cmp_lt_i32_e32 vcc_lo, -1, v13
	v_cmp_gt_i32_e64 s2, s13, v13
	s_and_b32 s2, vcc_lo, s2
	s_xor_b32 s2, s2, -1
	s_delay_alu instid0(SALU_CYCLE_1) | instskip(NEXT) | instid1(SALU_CYCLE_1)
	s_or_b32 s2, s3, s2
	s_or_not1_b32 s22, s2, exec_lo
.LBB49_25:                              ;   in Loop: Header=BB49_10 Depth=1
	s_or_b32 exec_lo, exec_lo, s21
	s_mov_b32 s2, -1
	s_and_saveexec_b32 s3, s22
	s_cbranch_execz .LBB49_4
; %bb.26:                               ;   in Loop: Header=BB49_10 Depth=1
	v_add_nc_u64_e32 v[0:1], 32, v[0:1]
	v_add_nc_u64_e32 v[6:7], 0x80, v[6:7]
	v_add_nc_u64_e32 v[8:9], 0x80, v[8:9]
	v_add_nc_u64_e32 v[10:11], 0x100, v[10:11]
	s_xor_b32 s2, exec_lo, -1
	s_delay_alu instid0(VALU_DEP_4)
	v_cmp_ge_i64_e32 vcc_lo, v[0:1], v[2:3]
	s_or_not1_b32 s19, vcc_lo, exec_lo
	s_branch .LBB49_4
.LBB49_27:
	s_or_b32 exec_lo, exec_lo, s5
	s_delay_alu instid0(SALU_CYCLE_1)
	s_and_b32 s2, s7, exec_lo
.LBB49_28:
	s_or_b32 exec_lo, exec_lo, s14
	s_delay_alu instid0(SALU_CYCLE_1)
	s_or_not1_b32 s2, s2, exec_lo
.LBB49_29:
	s_or_b32 exec_lo, exec_lo, s12
	s_delay_alu instid0(SALU_CYCLE_1)
	s_and_b32 exec_lo, exec_lo, s2
	s_cbranch_execz .LBB49_31
; %bb.30:
	s_load_b64 s[0:1], s[0:1], 0x40
	v_mov_b32_e32 v0, 0
	s_wait_kmcnt 0x0
	global_store_b32 v0, v15, s[0:1]
.LBB49_31:
	s_endpgm
	.section	.rodata,"a",@progbits
	.p2align	6, 0x0
	.amdhsa_kernel _ZN9rocsparseL23check_matrix_csr_deviceILj256ELj32E21rocsparse_complex_numIfEliEEvT3_S3_T2_PKT1_PKS4_PKS3_SB_21rocsparse_index_base_22rocsparse_matrix_type_20rocsparse_fill_mode_23rocsparse_storage_mode_P22rocsparse_data_status_
		.amdhsa_group_segment_fixed_size 0
		.amdhsa_private_segment_fixed_size 0
		.amdhsa_kernarg_size 72
		.amdhsa_user_sgpr_count 2
		.amdhsa_user_sgpr_dispatch_ptr 0
		.amdhsa_user_sgpr_queue_ptr 0
		.amdhsa_user_sgpr_kernarg_segment_ptr 1
		.amdhsa_user_sgpr_dispatch_id 0
		.amdhsa_user_sgpr_kernarg_preload_length 0
		.amdhsa_user_sgpr_kernarg_preload_offset 0
		.amdhsa_user_sgpr_private_segment_size 0
		.amdhsa_wavefront_size32 1
		.amdhsa_uses_dynamic_stack 0
		.amdhsa_enable_private_segment 0
		.amdhsa_system_sgpr_workgroup_id_x 1
		.amdhsa_system_sgpr_workgroup_id_y 0
		.amdhsa_system_sgpr_workgroup_id_z 0
		.amdhsa_system_sgpr_workgroup_info 0
		.amdhsa_system_vgpr_workitem_id 0
		.amdhsa_next_free_vgpr 18
		.amdhsa_next_free_sgpr 23
		.amdhsa_named_barrier_count 0
		.amdhsa_reserve_vcc 1
		.amdhsa_float_round_mode_32 0
		.amdhsa_float_round_mode_16_64 0
		.amdhsa_float_denorm_mode_32 3
		.amdhsa_float_denorm_mode_16_64 3
		.amdhsa_fp16_overflow 0
		.amdhsa_memory_ordered 1
		.amdhsa_forward_progress 1
		.amdhsa_inst_pref_size 9
		.amdhsa_round_robin_scheduling 0
		.amdhsa_exception_fp_ieee_invalid_op 0
		.amdhsa_exception_fp_denorm_src 0
		.amdhsa_exception_fp_ieee_div_zero 0
		.amdhsa_exception_fp_ieee_overflow 0
		.amdhsa_exception_fp_ieee_underflow 0
		.amdhsa_exception_fp_ieee_inexact 0
		.amdhsa_exception_int_div_zero 0
	.end_amdhsa_kernel
	.section	.text._ZN9rocsparseL23check_matrix_csr_deviceILj256ELj32E21rocsparse_complex_numIfEliEEvT3_S3_T2_PKT1_PKS4_PKS3_SB_21rocsparse_index_base_22rocsparse_matrix_type_20rocsparse_fill_mode_23rocsparse_storage_mode_P22rocsparse_data_status_,"axG",@progbits,_ZN9rocsparseL23check_matrix_csr_deviceILj256ELj32E21rocsparse_complex_numIfEliEEvT3_S3_T2_PKT1_PKS4_PKS3_SB_21rocsparse_index_base_22rocsparse_matrix_type_20rocsparse_fill_mode_23rocsparse_storage_mode_P22rocsparse_data_status_,comdat
.Lfunc_end49:
	.size	_ZN9rocsparseL23check_matrix_csr_deviceILj256ELj32E21rocsparse_complex_numIfEliEEvT3_S3_T2_PKT1_PKS4_PKS3_SB_21rocsparse_index_base_22rocsparse_matrix_type_20rocsparse_fill_mode_23rocsparse_storage_mode_P22rocsparse_data_status_, .Lfunc_end49-_ZN9rocsparseL23check_matrix_csr_deviceILj256ELj32E21rocsparse_complex_numIfEliEEvT3_S3_T2_PKT1_PKS4_PKS3_SB_21rocsparse_index_base_22rocsparse_matrix_type_20rocsparse_fill_mode_23rocsparse_storage_mode_P22rocsparse_data_status_
                                        ; -- End function
	.set _ZN9rocsparseL23check_matrix_csr_deviceILj256ELj32E21rocsparse_complex_numIfEliEEvT3_S3_T2_PKT1_PKS4_PKS3_SB_21rocsparse_index_base_22rocsparse_matrix_type_20rocsparse_fill_mode_23rocsparse_storage_mode_P22rocsparse_data_status_.num_vgpr, 18
	.set _ZN9rocsparseL23check_matrix_csr_deviceILj256ELj32E21rocsparse_complex_numIfEliEEvT3_S3_T2_PKT1_PKS4_PKS3_SB_21rocsparse_index_base_22rocsparse_matrix_type_20rocsparse_fill_mode_23rocsparse_storage_mode_P22rocsparse_data_status_.num_agpr, 0
	.set _ZN9rocsparseL23check_matrix_csr_deviceILj256ELj32E21rocsparse_complex_numIfEliEEvT3_S3_T2_PKT1_PKS4_PKS3_SB_21rocsparse_index_base_22rocsparse_matrix_type_20rocsparse_fill_mode_23rocsparse_storage_mode_P22rocsparse_data_status_.numbered_sgpr, 23
	.set _ZN9rocsparseL23check_matrix_csr_deviceILj256ELj32E21rocsparse_complex_numIfEliEEvT3_S3_T2_PKT1_PKS4_PKS3_SB_21rocsparse_index_base_22rocsparse_matrix_type_20rocsparse_fill_mode_23rocsparse_storage_mode_P22rocsparse_data_status_.num_named_barrier, 0
	.set _ZN9rocsparseL23check_matrix_csr_deviceILj256ELj32E21rocsparse_complex_numIfEliEEvT3_S3_T2_PKT1_PKS4_PKS3_SB_21rocsparse_index_base_22rocsparse_matrix_type_20rocsparse_fill_mode_23rocsparse_storage_mode_P22rocsparse_data_status_.private_seg_size, 0
	.set _ZN9rocsparseL23check_matrix_csr_deviceILj256ELj32E21rocsparse_complex_numIfEliEEvT3_S3_T2_PKT1_PKS4_PKS3_SB_21rocsparse_index_base_22rocsparse_matrix_type_20rocsparse_fill_mode_23rocsparse_storage_mode_P22rocsparse_data_status_.uses_vcc, 1
	.set _ZN9rocsparseL23check_matrix_csr_deviceILj256ELj32E21rocsparse_complex_numIfEliEEvT3_S3_T2_PKT1_PKS4_PKS3_SB_21rocsparse_index_base_22rocsparse_matrix_type_20rocsparse_fill_mode_23rocsparse_storage_mode_P22rocsparse_data_status_.uses_flat_scratch, 0
	.set _ZN9rocsparseL23check_matrix_csr_deviceILj256ELj32E21rocsparse_complex_numIfEliEEvT3_S3_T2_PKT1_PKS4_PKS3_SB_21rocsparse_index_base_22rocsparse_matrix_type_20rocsparse_fill_mode_23rocsparse_storage_mode_P22rocsparse_data_status_.has_dyn_sized_stack, 0
	.set _ZN9rocsparseL23check_matrix_csr_deviceILj256ELj32E21rocsparse_complex_numIfEliEEvT3_S3_T2_PKT1_PKS4_PKS3_SB_21rocsparse_index_base_22rocsparse_matrix_type_20rocsparse_fill_mode_23rocsparse_storage_mode_P22rocsparse_data_status_.has_recursion, 0
	.set _ZN9rocsparseL23check_matrix_csr_deviceILj256ELj32E21rocsparse_complex_numIfEliEEvT3_S3_T2_PKT1_PKS4_PKS3_SB_21rocsparse_index_base_22rocsparse_matrix_type_20rocsparse_fill_mode_23rocsparse_storage_mode_P22rocsparse_data_status_.has_indirect_call, 0
	.section	.AMDGPU.csdata,"",@progbits
; Kernel info:
; codeLenInByte = 1068
; TotalNumSgprs: 25
; NumVgprs: 18
; ScratchSize: 0
; MemoryBound: 0
; FloatMode: 240
; IeeeMode: 1
; LDSByteSize: 0 bytes/workgroup (compile time only)
; SGPRBlocks: 0
; VGPRBlocks: 1
; NumSGPRsForWavesPerEU: 25
; NumVGPRsForWavesPerEU: 18
; NamedBarCnt: 0
; Occupancy: 16
; WaveLimiterHint : 0
; COMPUTE_PGM_RSRC2:SCRATCH_EN: 0
; COMPUTE_PGM_RSRC2:USER_SGPR: 2
; COMPUTE_PGM_RSRC2:TRAP_HANDLER: 0
; COMPUTE_PGM_RSRC2:TGID_X_EN: 1
; COMPUTE_PGM_RSRC2:TGID_Y_EN: 0
; COMPUTE_PGM_RSRC2:TGID_Z_EN: 0
; COMPUTE_PGM_RSRC2:TIDIG_COMP_CNT: 0
	.section	.text._ZN9rocsparseL23check_matrix_csr_deviceILj256ELj64E21rocsparse_complex_numIfEliEEvT3_S3_T2_PKT1_PKS4_PKS3_SB_21rocsparse_index_base_22rocsparse_matrix_type_20rocsparse_fill_mode_23rocsparse_storage_mode_P22rocsparse_data_status_,"axG",@progbits,_ZN9rocsparseL23check_matrix_csr_deviceILj256ELj64E21rocsparse_complex_numIfEliEEvT3_S3_T2_PKT1_PKS4_PKS3_SB_21rocsparse_index_base_22rocsparse_matrix_type_20rocsparse_fill_mode_23rocsparse_storage_mode_P22rocsparse_data_status_,comdat
	.globl	_ZN9rocsparseL23check_matrix_csr_deviceILj256ELj64E21rocsparse_complex_numIfEliEEvT3_S3_T2_PKT1_PKS4_PKS3_SB_21rocsparse_index_base_22rocsparse_matrix_type_20rocsparse_fill_mode_23rocsparse_storage_mode_P22rocsparse_data_status_ ; -- Begin function _ZN9rocsparseL23check_matrix_csr_deviceILj256ELj64E21rocsparse_complex_numIfEliEEvT3_S3_T2_PKT1_PKS4_PKS3_SB_21rocsparse_index_base_22rocsparse_matrix_type_20rocsparse_fill_mode_23rocsparse_storage_mode_P22rocsparse_data_status_
	.p2align	8
	.type	_ZN9rocsparseL23check_matrix_csr_deviceILj256ELj64E21rocsparse_complex_numIfEliEEvT3_S3_T2_PKT1_PKS4_PKS3_SB_21rocsparse_index_base_22rocsparse_matrix_type_20rocsparse_fill_mode_23rocsparse_storage_mode_P22rocsparse_data_status_,@function
_ZN9rocsparseL23check_matrix_csr_deviceILj256ELj64E21rocsparse_complex_numIfEliEEvT3_S3_T2_PKT1_PKS4_PKS3_SB_21rocsparse_index_base_22rocsparse_matrix_type_20rocsparse_fill_mode_23rocsparse_storage_mode_P22rocsparse_data_status_: ; @_ZN9rocsparseL23check_matrix_csr_deviceILj256ELj64E21rocsparse_complex_numIfEliEEvT3_S3_T2_PKT1_PKS4_PKS3_SB_21rocsparse_index_base_22rocsparse_matrix_type_20rocsparse_fill_mode_23rocsparse_storage_mode_P22rocsparse_data_status_
; %bb.0:
	s_bfe_u32 s2, ttmp6, 0x4000c
	s_load_b64 s[12:13], s[0:1], 0x0
	s_add_co_i32 s2, s2, 1
	s_and_b32 s3, ttmp6, 15
	s_mul_i32 s2, ttmp9, s2
	s_getreg_b32 s4, hwreg(HW_REG_IB_STS2, 6, 4)
	s_add_co_i32 s3, s3, s2
	s_cmp_eq_u32 s4, 0
	s_cselect_b32 s2, ttmp9, s3
	s_delay_alu instid0(SALU_CYCLE_1) | instskip(SKIP_1) | instid1(VALU_DEP_1)
	v_lshl_or_b32 v1, s2, 8, v0
	s_mov_b32 s2, exec_lo
	v_lshrrev_b32_e32 v14, 6, v1
	s_wait_kmcnt 0x0
	s_delay_alu instid0(VALU_DEP_1)
	v_cmpx_gt_i32_e64 s12, v14
	s_cbranch_execz .LBB50_31
; %bb.1:
	s_load_b64 s[2:3], s[0:1], 0x18
	v_dual_lshlrev_b32 v1, 3, v14 :: v_dual_mov_b32 v15, 3
	s_wait_kmcnt 0x0
	global_load_b128 v[6:9], v1, s[2:3]
	s_wait_xcnt 0x0
	s_load_b64 s[2:3], s[2:3], 0x0
	s_wait_loadcnt 0x0
	s_wait_kmcnt 0x0
	v_sub_nc_u64_e64 v[2:3], v[8:9], s[2:3]
	v_sub_nc_u64_e64 v[4:5], v[6:7], s[2:3]
	v_cmp_lt_i64_e64 s2, v[8:9], v[6:7]
	s_delay_alu instid0(VALU_DEP_3) | instskip(NEXT) | instid1(VALU_DEP_3)
	v_cmp_gt_i64_e32 vcc_lo, 0, v[2:3]
	v_cmp_lt_i64_e64 s3, -1, v[4:5]
	s_or_b32 s2, vcc_lo, s2
	s_delay_alu instid0(SALU_CYCLE_1) | instskip(SKIP_2) | instid1(SALU_CYCLE_1)
	s_xor_b32 s4, s2, -1
	s_mov_b32 s2, -1
	s_and_b32 s3, s3, s4
	s_and_saveexec_b32 s12, s3
	s_cbranch_execz .LBB50_29
; %bb.2:
	v_dual_mov_b32 v1, 0 :: v_dual_bitop2_b32 v0, 63, v0 bitop3:0x40
	v_mov_b32_e32 v15, 3
	s_mov_b32 s2, 0
	s_mov_b32 s14, exec_lo
	s_delay_alu instid0(VALU_DEP_2) | instskip(NEXT) | instid1(VALU_DEP_1)
	v_add_nc_u64_e32 v[0:1], v[4:5], v[0:1]
	v_cmpx_lt_u64_e64 v[0:1], v[2:3]
	s_cbranch_execz .LBB50_28
; %bb.3:
	s_clause 0x1
	s_load_b256 s[4:11], s[0:1], 0x20
	s_load_b64 s[2:3], s[0:1], 0x10
	v_lshl_add_u64 v[8:9], v[0:1], 2, -4
	s_wait_kmcnt 0x0
	s_cmp_lg_u32 s9, 0
	v_lshl_add_u64 v[10:11], v[0:1], 3, s[2:3]
	s_delay_alu instid0(VALU_DEP_2)
	v_add_nc_u64_e32 v[6:7], s[6:7], v[8:9]
	v_add_nc_u64_e32 v[8:9], s[4:5], v[8:9]
	s_cselect_b32 s9, -1, 0
	s_cmp_lg_u32 s10, 0
	v_add_nc_u64_e32 v[10:11], 4, v[10:11]
	s_cselect_b32 s4, -1, 0
	s_cmp_lg_u32 s11, 0
	s_mov_b32 s5, 0
	s_cselect_b32 s6, -1, 0
                                        ; implicit-def: $sgpr7
                                        ; implicit-def: $sgpr10
                                        ; implicit-def: $sgpr11
	s_branch .LBB50_10
.LBB50_4:                               ;   in Loop: Header=BB50_10 Depth=1
	s_or_b32 exec_lo, exec_lo, s3
	s_delay_alu instid0(SALU_CYCLE_1)
	s_or_not1_b32 s22, s2, exec_lo
	s_or_not1_b32 s2, s19, exec_lo
.LBB50_5:                               ;   in Loop: Header=BB50_10 Depth=1
	s_or_b32 exec_lo, exec_lo, s20
	s_delay_alu instid0(SALU_CYCLE_1)
	s_or_not1_b32 s3, s22, exec_lo
	s_or_not1_b32 s2, s2, exec_lo
.LBB50_6:                               ;   in Loop: Header=BB50_10 Depth=1
	s_or_b32 exec_lo, exec_lo, s18
	s_delay_alu instid0(SALU_CYCLE_1)
	s_or_not1_b32 s18, s3, exec_lo
	s_or_not1_b32 s3, s2, exec_lo
.LBB50_7:                               ;   in Loop: Header=BB50_10 Depth=1
	s_or_b32 exec_lo, exec_lo, s17
	s_delay_alu instid0(SALU_CYCLE_1)
	s_or_not1_b32 s17, s18, exec_lo
	s_or_not1_b32 s2, s3, exec_lo
.LBB50_8:                               ;   in Loop: Header=BB50_10 Depth=1
	s_or_b32 exec_lo, exec_lo, s16
	s_delay_alu instid0(SALU_CYCLE_1)
	s_and_not1_b32 s3, s11, exec_lo
	s_and_b32 s11, s17, exec_lo
	s_and_not1_b32 s10, s10, exec_lo
	s_and_b32 s2, s2, exec_lo
	s_or_b32 s11, s3, s11
	s_or_b32 s10, s10, s2
.LBB50_9:                               ;   in Loop: Header=BB50_10 Depth=1
	s_or_b32 exec_lo, exec_lo, s15
	s_delay_alu instid0(SALU_CYCLE_1) | instskip(NEXT) | instid1(SALU_CYCLE_1)
	s_and_b32 s2, exec_lo, s10
	s_or_b32 s5, s2, s5
	s_and_not1_b32 s2, s7, exec_lo
	s_and_b32 s3, s11, exec_lo
	s_delay_alu instid0(SALU_CYCLE_1)
	s_or_b32 s7, s2, s3
	s_and_not1_b32 exec_lo, exec_lo, s5
	s_cbranch_execz .LBB50_27
.LBB50_10:                              ; =>This Inner Loop Header: Depth=1
	global_load_b32 v16, v[8:9], off offset:4
	v_mov_b32_e32 v15, 4
	s_or_b32 s11, s11, exec_lo
	s_or_b32 s10, s10, exec_lo
	s_wait_loadcnt 0x0
	v_subrev_nc_u32_e32 v17, s8, v16
	s_delay_alu instid0(VALU_DEP_1) | instskip(SKIP_2) | instid1(SALU_CYCLE_1)
	v_cmp_lt_i32_e32 vcc_lo, -1, v17
	v_cmp_gt_i32_e64 s2, s13, v17
	s_and_b32 s2, vcc_lo, s2
	s_and_saveexec_b32 s15, s2
	s_cbranch_execz .LBB50_9
; %bb.11:                               ;   in Loop: Header=BB50_10 Depth=1
	v_cmp_le_i64_e64 s19, v[0:1], v[4:5]
	v_mov_b32_e32 v15, 4
	s_mov_b32 s16, exec_lo
	s_mov_b32 s3, s19
	v_cmpx_gt_i64_e64 v[0:1], v[4:5]
	s_cbranch_execz .LBB50_13
; %bb.12:                               ;   in Loop: Header=BB50_10 Depth=1
	global_load_b64 v[12:13], v[6:7], off
	s_wait_loadcnt 0x0
	v_subrev_nc_u32_e32 v15, s8, v12
	v_cmp_ne_u32_e64 s3, v13, v12
	s_delay_alu instid0(VALU_DEP_2) | instskip(SKIP_3) | instid1(SALU_CYCLE_1)
	v_cmp_lt_i32_e32 vcc_lo, -1, v15
	v_cmp_gt_i32_e64 s2, s13, v15
	v_mov_b32_e32 v15, 5
	s_and_b32 s2, vcc_lo, s2
	s_xor_b32 s2, s2, -1
	s_delay_alu instid0(SALU_CYCLE_1) | instskip(SKIP_2) | instid1(SALU_CYCLE_1)
	s_or_b32 s2, s3, s2
	s_and_not1_b32 s3, s19, exec_lo
	s_and_b32 s2, s2, exec_lo
	s_or_b32 s3, s3, s2
.LBB50_13:                              ;   in Loop: Header=BB50_10 Depth=1
	s_or_b32 exec_lo, exec_lo, s16
	s_mov_b32 s2, -1
	s_mov_b32 s17, -1
	s_and_saveexec_b32 s16, s3
	s_cbranch_execz .LBB50_8
; %bb.14:                               ;   in Loop: Header=BB50_10 Depth=1
	global_load_b64 v[12:13], v[10:11], off offset:-4
	v_mov_b32_e32 v15, 1
	s_mov_b32 s3, -1
	s_mov_b32 s18, -1
	s_wait_loadcnt 0x0
	v_cmp_neq_f32_e32 vcc_lo, 0x7f800000, v12
	v_cmp_neq_f32_e64 s2, 0x7f800000, v13
	s_and_b32 s2, vcc_lo, s2
	s_delay_alu instid0(SALU_CYCLE_1)
	s_and_saveexec_b32 s17, s2
	s_cbranch_execz .LBB50_7
; %bb.15:                               ;   in Loop: Header=BB50_10 Depth=1
	v_mov_b32_e32 v15, 2
	s_mov_b32 s2, -1
	s_mov_b32 s18, exec_lo
	v_cmpx_o_f32_e32 v12, v13
	s_cbranch_execz .LBB50_6
; %bb.16:                               ;   in Loop: Header=BB50_10 Depth=1
	s_and_b32 vcc_lo, exec_lo, s9
	s_cbranch_vccz .LBB50_19
; %bb.17:                               ;   in Loop: Header=BB50_10 Depth=1
	s_and_b32 vcc_lo, exec_lo, s4
	s_cbranch_vccz .LBB50_20
; %bb.18:                               ;   in Loop: Header=BB50_10 Depth=1
	v_cmp_le_i32_e32 vcc_lo, v14, v17
	s_mov_b32 s3, 7
	s_and_b32 s21, vcc_lo, exec_lo
	s_cbranch_execz .LBB50_21
	s_branch .LBB50_22
.LBB50_19:                              ;   in Loop: Header=BB50_10 Depth=1
	s_mov_b32 s3, 2
	s_mov_b32 s21, -1
	s_branch .LBB50_22
.LBB50_20:                              ;   in Loop: Header=BB50_10 Depth=1
	s_mov_b32 s21, 0
	s_mov_b32 s3, 2
.LBB50_21:                              ;   in Loop: Header=BB50_10 Depth=1
	v_cmp_ge_i32_e32 vcc_lo, v14, v17
	s_and_not1_b32 s20, s21, exec_lo
	s_mov_b32 s3, 7
	s_and_b32 s21, vcc_lo, exec_lo
	s_delay_alu instid0(SALU_CYCLE_1)
	s_or_b32 s21, s20, s21
.LBB50_22:                              ;   in Loop: Header=BB50_10 Depth=1
	v_mov_b32_e32 v15, s3
	s_mov_b32 s22, -1
	s_and_saveexec_b32 s20, s21
	s_cbranch_execz .LBB50_5
; %bb.23:                               ;   in Loop: Header=BB50_10 Depth=1
	v_mov_b32_e32 v15, s3
	s_nor_b32 s2, s6, s19
	s_mov_b32 s19, -1
	s_and_saveexec_b32 s21, s2
	s_cbranch_execz .LBB50_25
; %bb.24:                               ;   in Loop: Header=BB50_10 Depth=1
	global_load_b32 v12, v[8:9], off
	v_mov_b32_e32 v15, 6
	s_wait_loadcnt 0x0
	v_subrev_nc_u32_e32 v13, s8, v12
	v_cmp_gt_i32_e64 s3, v16, v12
	s_delay_alu instid0(VALU_DEP_2) | instskip(SKIP_2) | instid1(SALU_CYCLE_1)
	v_cmp_lt_i32_e32 vcc_lo, -1, v13
	v_cmp_gt_i32_e64 s2, s13, v13
	s_and_b32 s2, vcc_lo, s2
	s_xor_b32 s2, s2, -1
	s_delay_alu instid0(SALU_CYCLE_1) | instskip(NEXT) | instid1(SALU_CYCLE_1)
	s_or_b32 s2, s3, s2
	s_or_not1_b32 s22, s2, exec_lo
.LBB50_25:                              ;   in Loop: Header=BB50_10 Depth=1
	s_or_b32 exec_lo, exec_lo, s21
	s_mov_b32 s2, -1
	s_and_saveexec_b32 s3, s22
	s_cbranch_execz .LBB50_4
; %bb.26:                               ;   in Loop: Header=BB50_10 Depth=1
	v_add_nc_u64_e32 v[0:1], 64, v[0:1]
	v_add_nc_u64_e32 v[6:7], 0x100, v[6:7]
	v_add_nc_u64_e32 v[8:9], 0x100, v[8:9]
	v_add_nc_u64_e32 v[10:11], 0x200, v[10:11]
	s_xor_b32 s2, exec_lo, -1
	s_delay_alu instid0(VALU_DEP_4)
	v_cmp_ge_i64_e32 vcc_lo, v[0:1], v[2:3]
	s_or_not1_b32 s19, vcc_lo, exec_lo
	s_branch .LBB50_4
.LBB50_27:
	s_or_b32 exec_lo, exec_lo, s5
	s_delay_alu instid0(SALU_CYCLE_1)
	s_and_b32 s2, s7, exec_lo
.LBB50_28:
	s_or_b32 exec_lo, exec_lo, s14
	s_delay_alu instid0(SALU_CYCLE_1)
	s_or_not1_b32 s2, s2, exec_lo
.LBB50_29:
	s_or_b32 exec_lo, exec_lo, s12
	s_delay_alu instid0(SALU_CYCLE_1)
	s_and_b32 exec_lo, exec_lo, s2
	s_cbranch_execz .LBB50_31
; %bb.30:
	s_load_b64 s[0:1], s[0:1], 0x40
	v_mov_b32_e32 v0, 0
	s_wait_kmcnt 0x0
	global_store_b32 v0, v15, s[0:1]
.LBB50_31:
	s_endpgm
	.section	.rodata,"a",@progbits
	.p2align	6, 0x0
	.amdhsa_kernel _ZN9rocsparseL23check_matrix_csr_deviceILj256ELj64E21rocsparse_complex_numIfEliEEvT3_S3_T2_PKT1_PKS4_PKS3_SB_21rocsparse_index_base_22rocsparse_matrix_type_20rocsparse_fill_mode_23rocsparse_storage_mode_P22rocsparse_data_status_
		.amdhsa_group_segment_fixed_size 0
		.amdhsa_private_segment_fixed_size 0
		.amdhsa_kernarg_size 72
		.amdhsa_user_sgpr_count 2
		.amdhsa_user_sgpr_dispatch_ptr 0
		.amdhsa_user_sgpr_queue_ptr 0
		.amdhsa_user_sgpr_kernarg_segment_ptr 1
		.amdhsa_user_sgpr_dispatch_id 0
		.amdhsa_user_sgpr_kernarg_preload_length 0
		.amdhsa_user_sgpr_kernarg_preload_offset 0
		.amdhsa_user_sgpr_private_segment_size 0
		.amdhsa_wavefront_size32 1
		.amdhsa_uses_dynamic_stack 0
		.amdhsa_enable_private_segment 0
		.amdhsa_system_sgpr_workgroup_id_x 1
		.amdhsa_system_sgpr_workgroup_id_y 0
		.amdhsa_system_sgpr_workgroup_id_z 0
		.amdhsa_system_sgpr_workgroup_info 0
		.amdhsa_system_vgpr_workitem_id 0
		.amdhsa_next_free_vgpr 18
		.amdhsa_next_free_sgpr 23
		.amdhsa_named_barrier_count 0
		.amdhsa_reserve_vcc 1
		.amdhsa_float_round_mode_32 0
		.amdhsa_float_round_mode_16_64 0
		.amdhsa_float_denorm_mode_32 3
		.amdhsa_float_denorm_mode_16_64 3
		.amdhsa_fp16_overflow 0
		.amdhsa_memory_ordered 1
		.amdhsa_forward_progress 1
		.amdhsa_inst_pref_size 9
		.amdhsa_round_robin_scheduling 0
		.amdhsa_exception_fp_ieee_invalid_op 0
		.amdhsa_exception_fp_denorm_src 0
		.amdhsa_exception_fp_ieee_div_zero 0
		.amdhsa_exception_fp_ieee_overflow 0
		.amdhsa_exception_fp_ieee_underflow 0
		.amdhsa_exception_fp_ieee_inexact 0
		.amdhsa_exception_int_div_zero 0
	.end_amdhsa_kernel
	.section	.text._ZN9rocsparseL23check_matrix_csr_deviceILj256ELj64E21rocsparse_complex_numIfEliEEvT3_S3_T2_PKT1_PKS4_PKS3_SB_21rocsparse_index_base_22rocsparse_matrix_type_20rocsparse_fill_mode_23rocsparse_storage_mode_P22rocsparse_data_status_,"axG",@progbits,_ZN9rocsparseL23check_matrix_csr_deviceILj256ELj64E21rocsparse_complex_numIfEliEEvT3_S3_T2_PKT1_PKS4_PKS3_SB_21rocsparse_index_base_22rocsparse_matrix_type_20rocsparse_fill_mode_23rocsparse_storage_mode_P22rocsparse_data_status_,comdat
.Lfunc_end50:
	.size	_ZN9rocsparseL23check_matrix_csr_deviceILj256ELj64E21rocsparse_complex_numIfEliEEvT3_S3_T2_PKT1_PKS4_PKS3_SB_21rocsparse_index_base_22rocsparse_matrix_type_20rocsparse_fill_mode_23rocsparse_storage_mode_P22rocsparse_data_status_, .Lfunc_end50-_ZN9rocsparseL23check_matrix_csr_deviceILj256ELj64E21rocsparse_complex_numIfEliEEvT3_S3_T2_PKT1_PKS4_PKS3_SB_21rocsparse_index_base_22rocsparse_matrix_type_20rocsparse_fill_mode_23rocsparse_storage_mode_P22rocsparse_data_status_
                                        ; -- End function
	.set _ZN9rocsparseL23check_matrix_csr_deviceILj256ELj64E21rocsparse_complex_numIfEliEEvT3_S3_T2_PKT1_PKS4_PKS3_SB_21rocsparse_index_base_22rocsparse_matrix_type_20rocsparse_fill_mode_23rocsparse_storage_mode_P22rocsparse_data_status_.num_vgpr, 18
	.set _ZN9rocsparseL23check_matrix_csr_deviceILj256ELj64E21rocsparse_complex_numIfEliEEvT3_S3_T2_PKT1_PKS4_PKS3_SB_21rocsparse_index_base_22rocsparse_matrix_type_20rocsparse_fill_mode_23rocsparse_storage_mode_P22rocsparse_data_status_.num_agpr, 0
	.set _ZN9rocsparseL23check_matrix_csr_deviceILj256ELj64E21rocsparse_complex_numIfEliEEvT3_S3_T2_PKT1_PKS4_PKS3_SB_21rocsparse_index_base_22rocsparse_matrix_type_20rocsparse_fill_mode_23rocsparse_storage_mode_P22rocsparse_data_status_.numbered_sgpr, 23
	.set _ZN9rocsparseL23check_matrix_csr_deviceILj256ELj64E21rocsparse_complex_numIfEliEEvT3_S3_T2_PKT1_PKS4_PKS3_SB_21rocsparse_index_base_22rocsparse_matrix_type_20rocsparse_fill_mode_23rocsparse_storage_mode_P22rocsparse_data_status_.num_named_barrier, 0
	.set _ZN9rocsparseL23check_matrix_csr_deviceILj256ELj64E21rocsparse_complex_numIfEliEEvT3_S3_T2_PKT1_PKS4_PKS3_SB_21rocsparse_index_base_22rocsparse_matrix_type_20rocsparse_fill_mode_23rocsparse_storage_mode_P22rocsparse_data_status_.private_seg_size, 0
	.set _ZN9rocsparseL23check_matrix_csr_deviceILj256ELj64E21rocsparse_complex_numIfEliEEvT3_S3_T2_PKT1_PKS4_PKS3_SB_21rocsparse_index_base_22rocsparse_matrix_type_20rocsparse_fill_mode_23rocsparse_storage_mode_P22rocsparse_data_status_.uses_vcc, 1
	.set _ZN9rocsparseL23check_matrix_csr_deviceILj256ELj64E21rocsparse_complex_numIfEliEEvT3_S3_T2_PKT1_PKS4_PKS3_SB_21rocsparse_index_base_22rocsparse_matrix_type_20rocsparse_fill_mode_23rocsparse_storage_mode_P22rocsparse_data_status_.uses_flat_scratch, 0
	.set _ZN9rocsparseL23check_matrix_csr_deviceILj256ELj64E21rocsparse_complex_numIfEliEEvT3_S3_T2_PKT1_PKS4_PKS3_SB_21rocsparse_index_base_22rocsparse_matrix_type_20rocsparse_fill_mode_23rocsparse_storage_mode_P22rocsparse_data_status_.has_dyn_sized_stack, 0
	.set _ZN9rocsparseL23check_matrix_csr_deviceILj256ELj64E21rocsparse_complex_numIfEliEEvT3_S3_T2_PKT1_PKS4_PKS3_SB_21rocsparse_index_base_22rocsparse_matrix_type_20rocsparse_fill_mode_23rocsparse_storage_mode_P22rocsparse_data_status_.has_recursion, 0
	.set _ZN9rocsparseL23check_matrix_csr_deviceILj256ELj64E21rocsparse_complex_numIfEliEEvT3_S3_T2_PKT1_PKS4_PKS3_SB_21rocsparse_index_base_22rocsparse_matrix_type_20rocsparse_fill_mode_23rocsparse_storage_mode_P22rocsparse_data_status_.has_indirect_call, 0
	.section	.AMDGPU.csdata,"",@progbits
; Kernel info:
; codeLenInByte = 1068
; TotalNumSgprs: 25
; NumVgprs: 18
; ScratchSize: 0
; MemoryBound: 0
; FloatMode: 240
; IeeeMode: 1
; LDSByteSize: 0 bytes/workgroup (compile time only)
; SGPRBlocks: 0
; VGPRBlocks: 1
; NumSGPRsForWavesPerEU: 25
; NumVGPRsForWavesPerEU: 18
; NamedBarCnt: 0
; Occupancy: 16
; WaveLimiterHint : 0
; COMPUTE_PGM_RSRC2:SCRATCH_EN: 0
; COMPUTE_PGM_RSRC2:USER_SGPR: 2
; COMPUTE_PGM_RSRC2:TRAP_HANDLER: 0
; COMPUTE_PGM_RSRC2:TGID_X_EN: 1
; COMPUTE_PGM_RSRC2:TGID_Y_EN: 0
; COMPUTE_PGM_RSRC2:TGID_Z_EN: 0
; COMPUTE_PGM_RSRC2:TIDIG_COMP_CNT: 0
	.section	.text._ZN9rocsparseL23check_matrix_csr_deviceILj256ELj128E21rocsparse_complex_numIfEliEEvT3_S3_T2_PKT1_PKS4_PKS3_SB_21rocsparse_index_base_22rocsparse_matrix_type_20rocsparse_fill_mode_23rocsparse_storage_mode_P22rocsparse_data_status_,"axG",@progbits,_ZN9rocsparseL23check_matrix_csr_deviceILj256ELj128E21rocsparse_complex_numIfEliEEvT3_S3_T2_PKT1_PKS4_PKS3_SB_21rocsparse_index_base_22rocsparse_matrix_type_20rocsparse_fill_mode_23rocsparse_storage_mode_P22rocsparse_data_status_,comdat
	.globl	_ZN9rocsparseL23check_matrix_csr_deviceILj256ELj128E21rocsparse_complex_numIfEliEEvT3_S3_T2_PKT1_PKS4_PKS3_SB_21rocsparse_index_base_22rocsparse_matrix_type_20rocsparse_fill_mode_23rocsparse_storage_mode_P22rocsparse_data_status_ ; -- Begin function _ZN9rocsparseL23check_matrix_csr_deviceILj256ELj128E21rocsparse_complex_numIfEliEEvT3_S3_T2_PKT1_PKS4_PKS3_SB_21rocsparse_index_base_22rocsparse_matrix_type_20rocsparse_fill_mode_23rocsparse_storage_mode_P22rocsparse_data_status_
	.p2align	8
	.type	_ZN9rocsparseL23check_matrix_csr_deviceILj256ELj128E21rocsparse_complex_numIfEliEEvT3_S3_T2_PKT1_PKS4_PKS3_SB_21rocsparse_index_base_22rocsparse_matrix_type_20rocsparse_fill_mode_23rocsparse_storage_mode_P22rocsparse_data_status_,@function
_ZN9rocsparseL23check_matrix_csr_deviceILj256ELj128E21rocsparse_complex_numIfEliEEvT3_S3_T2_PKT1_PKS4_PKS3_SB_21rocsparse_index_base_22rocsparse_matrix_type_20rocsparse_fill_mode_23rocsparse_storage_mode_P22rocsparse_data_status_: ; @_ZN9rocsparseL23check_matrix_csr_deviceILj256ELj128E21rocsparse_complex_numIfEliEEvT3_S3_T2_PKT1_PKS4_PKS3_SB_21rocsparse_index_base_22rocsparse_matrix_type_20rocsparse_fill_mode_23rocsparse_storage_mode_P22rocsparse_data_status_
; %bb.0:
	s_bfe_u32 s2, ttmp6, 0x4000c
	s_load_b64 s[12:13], s[0:1], 0x0
	s_add_co_i32 s2, s2, 1
	s_and_b32 s3, ttmp6, 15
	s_mul_i32 s2, ttmp9, s2
	s_getreg_b32 s4, hwreg(HW_REG_IB_STS2, 6, 4)
	s_add_co_i32 s3, s3, s2
	s_cmp_eq_u32 s4, 0
	s_cselect_b32 s2, ttmp9, s3
	s_delay_alu instid0(SALU_CYCLE_1) | instskip(SKIP_1) | instid1(VALU_DEP_1)
	v_lshl_or_b32 v1, s2, 8, v0
	s_mov_b32 s2, exec_lo
	v_lshrrev_b32_e32 v14, 7, v1
	s_wait_kmcnt 0x0
	s_delay_alu instid0(VALU_DEP_1)
	v_cmpx_gt_i32_e64 s12, v14
	s_cbranch_execz .LBB51_31
; %bb.1:
	s_load_b64 s[2:3], s[0:1], 0x18
	v_dual_lshlrev_b32 v1, 3, v14 :: v_dual_mov_b32 v15, 3
	s_wait_kmcnt 0x0
	global_load_b128 v[6:9], v1, s[2:3]
	s_wait_xcnt 0x0
	s_load_b64 s[2:3], s[2:3], 0x0
	s_wait_loadcnt 0x0
	s_wait_kmcnt 0x0
	v_sub_nc_u64_e64 v[2:3], v[8:9], s[2:3]
	v_sub_nc_u64_e64 v[4:5], v[6:7], s[2:3]
	v_cmp_lt_i64_e64 s2, v[8:9], v[6:7]
	s_delay_alu instid0(VALU_DEP_3) | instskip(NEXT) | instid1(VALU_DEP_3)
	v_cmp_gt_i64_e32 vcc_lo, 0, v[2:3]
	v_cmp_lt_i64_e64 s3, -1, v[4:5]
	s_or_b32 s2, vcc_lo, s2
	s_delay_alu instid0(SALU_CYCLE_1) | instskip(SKIP_2) | instid1(SALU_CYCLE_1)
	s_xor_b32 s4, s2, -1
	s_mov_b32 s2, -1
	s_and_b32 s3, s3, s4
	s_and_saveexec_b32 s12, s3
	s_cbranch_execz .LBB51_29
; %bb.2:
	v_and_b32_e32 v0, 0x7f, v0
	v_dual_mov_b32 v1, 0 :: v_dual_mov_b32 v15, 3
	s_mov_b32 s2, 0
	s_mov_b32 s14, exec_lo
	s_delay_alu instid0(VALU_DEP_1) | instskip(NEXT) | instid1(VALU_DEP_1)
	v_add_nc_u64_e32 v[0:1], v[4:5], v[0:1]
	v_cmpx_lt_u64_e64 v[0:1], v[2:3]
	s_cbranch_execz .LBB51_28
; %bb.3:
	s_clause 0x1
	s_load_b256 s[4:11], s[0:1], 0x20
	s_load_b64 s[2:3], s[0:1], 0x10
	v_lshl_add_u64 v[8:9], v[0:1], 2, -4
	s_wait_kmcnt 0x0
	s_cmp_lg_u32 s9, 0
	v_lshl_add_u64 v[10:11], v[0:1], 3, s[2:3]
	s_delay_alu instid0(VALU_DEP_2)
	v_add_nc_u64_e32 v[6:7], s[6:7], v[8:9]
	v_add_nc_u64_e32 v[8:9], s[4:5], v[8:9]
	s_cselect_b32 s9, -1, 0
	s_cmp_lg_u32 s10, 0
	v_add_nc_u64_e32 v[10:11], 4, v[10:11]
	s_cselect_b32 s4, -1, 0
	s_cmp_lg_u32 s11, 0
	s_mov_b32 s5, 0
	s_cselect_b32 s6, -1, 0
                                        ; implicit-def: $sgpr7
                                        ; implicit-def: $sgpr10
                                        ; implicit-def: $sgpr11
	s_branch .LBB51_10
.LBB51_4:                               ;   in Loop: Header=BB51_10 Depth=1
	s_or_b32 exec_lo, exec_lo, s3
	s_delay_alu instid0(SALU_CYCLE_1)
	s_or_not1_b32 s22, s2, exec_lo
	s_or_not1_b32 s2, s19, exec_lo
.LBB51_5:                               ;   in Loop: Header=BB51_10 Depth=1
	s_or_b32 exec_lo, exec_lo, s20
	s_delay_alu instid0(SALU_CYCLE_1)
	s_or_not1_b32 s3, s22, exec_lo
	s_or_not1_b32 s2, s2, exec_lo
.LBB51_6:                               ;   in Loop: Header=BB51_10 Depth=1
	s_or_b32 exec_lo, exec_lo, s18
	s_delay_alu instid0(SALU_CYCLE_1)
	s_or_not1_b32 s18, s3, exec_lo
	s_or_not1_b32 s3, s2, exec_lo
.LBB51_7:                               ;   in Loop: Header=BB51_10 Depth=1
	s_or_b32 exec_lo, exec_lo, s17
	s_delay_alu instid0(SALU_CYCLE_1)
	s_or_not1_b32 s17, s18, exec_lo
	s_or_not1_b32 s2, s3, exec_lo
.LBB51_8:                               ;   in Loop: Header=BB51_10 Depth=1
	s_or_b32 exec_lo, exec_lo, s16
	s_delay_alu instid0(SALU_CYCLE_1)
	s_and_not1_b32 s3, s11, exec_lo
	s_and_b32 s11, s17, exec_lo
	s_and_not1_b32 s10, s10, exec_lo
	s_and_b32 s2, s2, exec_lo
	s_or_b32 s11, s3, s11
	s_or_b32 s10, s10, s2
.LBB51_9:                               ;   in Loop: Header=BB51_10 Depth=1
	s_or_b32 exec_lo, exec_lo, s15
	s_delay_alu instid0(SALU_CYCLE_1) | instskip(NEXT) | instid1(SALU_CYCLE_1)
	s_and_b32 s2, exec_lo, s10
	s_or_b32 s5, s2, s5
	s_and_not1_b32 s2, s7, exec_lo
	s_and_b32 s3, s11, exec_lo
	s_delay_alu instid0(SALU_CYCLE_1)
	s_or_b32 s7, s2, s3
	s_and_not1_b32 exec_lo, exec_lo, s5
	s_cbranch_execz .LBB51_27
.LBB51_10:                              ; =>This Inner Loop Header: Depth=1
	global_load_b32 v16, v[8:9], off offset:4
	v_mov_b32_e32 v15, 4
	s_or_b32 s11, s11, exec_lo
	s_or_b32 s10, s10, exec_lo
	s_wait_loadcnt 0x0
	v_subrev_nc_u32_e32 v17, s8, v16
	s_delay_alu instid0(VALU_DEP_1) | instskip(SKIP_2) | instid1(SALU_CYCLE_1)
	v_cmp_lt_i32_e32 vcc_lo, -1, v17
	v_cmp_gt_i32_e64 s2, s13, v17
	s_and_b32 s2, vcc_lo, s2
	s_and_saveexec_b32 s15, s2
	s_cbranch_execz .LBB51_9
; %bb.11:                               ;   in Loop: Header=BB51_10 Depth=1
	v_cmp_le_i64_e64 s19, v[0:1], v[4:5]
	v_mov_b32_e32 v15, 4
	s_mov_b32 s16, exec_lo
	s_mov_b32 s3, s19
	v_cmpx_gt_i64_e64 v[0:1], v[4:5]
	s_cbranch_execz .LBB51_13
; %bb.12:                               ;   in Loop: Header=BB51_10 Depth=1
	global_load_b64 v[12:13], v[6:7], off
	s_wait_loadcnt 0x0
	v_subrev_nc_u32_e32 v15, s8, v12
	v_cmp_ne_u32_e64 s3, v13, v12
	s_delay_alu instid0(VALU_DEP_2) | instskip(SKIP_3) | instid1(SALU_CYCLE_1)
	v_cmp_lt_i32_e32 vcc_lo, -1, v15
	v_cmp_gt_i32_e64 s2, s13, v15
	v_mov_b32_e32 v15, 5
	s_and_b32 s2, vcc_lo, s2
	s_xor_b32 s2, s2, -1
	s_delay_alu instid0(SALU_CYCLE_1) | instskip(SKIP_2) | instid1(SALU_CYCLE_1)
	s_or_b32 s2, s3, s2
	s_and_not1_b32 s3, s19, exec_lo
	s_and_b32 s2, s2, exec_lo
	s_or_b32 s3, s3, s2
.LBB51_13:                              ;   in Loop: Header=BB51_10 Depth=1
	s_or_b32 exec_lo, exec_lo, s16
	s_mov_b32 s2, -1
	s_mov_b32 s17, -1
	s_and_saveexec_b32 s16, s3
	s_cbranch_execz .LBB51_8
; %bb.14:                               ;   in Loop: Header=BB51_10 Depth=1
	global_load_b64 v[12:13], v[10:11], off offset:-4
	v_mov_b32_e32 v15, 1
	s_mov_b32 s3, -1
	s_mov_b32 s18, -1
	s_wait_loadcnt 0x0
	v_cmp_neq_f32_e32 vcc_lo, 0x7f800000, v12
	v_cmp_neq_f32_e64 s2, 0x7f800000, v13
	s_and_b32 s2, vcc_lo, s2
	s_delay_alu instid0(SALU_CYCLE_1)
	s_and_saveexec_b32 s17, s2
	s_cbranch_execz .LBB51_7
; %bb.15:                               ;   in Loop: Header=BB51_10 Depth=1
	v_mov_b32_e32 v15, 2
	s_mov_b32 s2, -1
	s_mov_b32 s18, exec_lo
	v_cmpx_o_f32_e32 v12, v13
	s_cbranch_execz .LBB51_6
; %bb.16:                               ;   in Loop: Header=BB51_10 Depth=1
	s_and_b32 vcc_lo, exec_lo, s9
	s_cbranch_vccz .LBB51_19
; %bb.17:                               ;   in Loop: Header=BB51_10 Depth=1
	s_and_b32 vcc_lo, exec_lo, s4
	s_cbranch_vccz .LBB51_20
; %bb.18:                               ;   in Loop: Header=BB51_10 Depth=1
	v_cmp_le_i32_e32 vcc_lo, v14, v17
	s_mov_b32 s3, 7
	s_and_b32 s21, vcc_lo, exec_lo
	s_cbranch_execz .LBB51_21
	s_branch .LBB51_22
.LBB51_19:                              ;   in Loop: Header=BB51_10 Depth=1
	s_mov_b32 s3, 2
	s_mov_b32 s21, -1
	s_branch .LBB51_22
.LBB51_20:                              ;   in Loop: Header=BB51_10 Depth=1
	s_mov_b32 s21, 0
	s_mov_b32 s3, 2
.LBB51_21:                              ;   in Loop: Header=BB51_10 Depth=1
	v_cmp_ge_i32_e32 vcc_lo, v14, v17
	s_and_not1_b32 s20, s21, exec_lo
	s_mov_b32 s3, 7
	s_and_b32 s21, vcc_lo, exec_lo
	s_delay_alu instid0(SALU_CYCLE_1)
	s_or_b32 s21, s20, s21
.LBB51_22:                              ;   in Loop: Header=BB51_10 Depth=1
	v_mov_b32_e32 v15, s3
	s_mov_b32 s22, -1
	s_and_saveexec_b32 s20, s21
	s_cbranch_execz .LBB51_5
; %bb.23:                               ;   in Loop: Header=BB51_10 Depth=1
	v_mov_b32_e32 v15, s3
	s_nor_b32 s2, s6, s19
	s_mov_b32 s19, -1
	s_and_saveexec_b32 s21, s2
	s_cbranch_execz .LBB51_25
; %bb.24:                               ;   in Loop: Header=BB51_10 Depth=1
	global_load_b32 v12, v[8:9], off
	v_mov_b32_e32 v15, 6
	s_wait_loadcnt 0x0
	v_subrev_nc_u32_e32 v13, s8, v12
	v_cmp_gt_i32_e64 s3, v16, v12
	s_delay_alu instid0(VALU_DEP_2) | instskip(SKIP_2) | instid1(SALU_CYCLE_1)
	v_cmp_lt_i32_e32 vcc_lo, -1, v13
	v_cmp_gt_i32_e64 s2, s13, v13
	s_and_b32 s2, vcc_lo, s2
	s_xor_b32 s2, s2, -1
	s_delay_alu instid0(SALU_CYCLE_1) | instskip(NEXT) | instid1(SALU_CYCLE_1)
	s_or_b32 s2, s3, s2
	s_or_not1_b32 s22, s2, exec_lo
.LBB51_25:                              ;   in Loop: Header=BB51_10 Depth=1
	s_or_b32 exec_lo, exec_lo, s21
	s_mov_b32 s2, -1
	s_and_saveexec_b32 s3, s22
	s_cbranch_execz .LBB51_4
; %bb.26:                               ;   in Loop: Header=BB51_10 Depth=1
	v_add_nc_u64_e32 v[0:1], 0x80, v[0:1]
	v_add_nc_u64_e32 v[6:7], 0x200, v[6:7]
	;; [unrolled: 1-line block ×4, first 2 shown]
	s_xor_b32 s2, exec_lo, -1
	s_delay_alu instid0(VALU_DEP_4)
	v_cmp_ge_i64_e32 vcc_lo, v[0:1], v[2:3]
	s_or_not1_b32 s19, vcc_lo, exec_lo
	s_branch .LBB51_4
.LBB51_27:
	s_or_b32 exec_lo, exec_lo, s5
	s_delay_alu instid0(SALU_CYCLE_1)
	s_and_b32 s2, s7, exec_lo
.LBB51_28:
	s_or_b32 exec_lo, exec_lo, s14
	s_delay_alu instid0(SALU_CYCLE_1)
	s_or_not1_b32 s2, s2, exec_lo
.LBB51_29:
	s_or_b32 exec_lo, exec_lo, s12
	s_delay_alu instid0(SALU_CYCLE_1)
	s_and_b32 exec_lo, exec_lo, s2
	s_cbranch_execz .LBB51_31
; %bb.30:
	s_load_b64 s[0:1], s[0:1], 0x40
	v_mov_b32_e32 v0, 0
	s_wait_kmcnt 0x0
	global_store_b32 v0, v15, s[0:1]
.LBB51_31:
	s_endpgm
	.section	.rodata,"a",@progbits
	.p2align	6, 0x0
	.amdhsa_kernel _ZN9rocsparseL23check_matrix_csr_deviceILj256ELj128E21rocsparse_complex_numIfEliEEvT3_S3_T2_PKT1_PKS4_PKS3_SB_21rocsparse_index_base_22rocsparse_matrix_type_20rocsparse_fill_mode_23rocsparse_storage_mode_P22rocsparse_data_status_
		.amdhsa_group_segment_fixed_size 0
		.amdhsa_private_segment_fixed_size 0
		.amdhsa_kernarg_size 72
		.amdhsa_user_sgpr_count 2
		.amdhsa_user_sgpr_dispatch_ptr 0
		.amdhsa_user_sgpr_queue_ptr 0
		.amdhsa_user_sgpr_kernarg_segment_ptr 1
		.amdhsa_user_sgpr_dispatch_id 0
		.amdhsa_user_sgpr_kernarg_preload_length 0
		.amdhsa_user_sgpr_kernarg_preload_offset 0
		.amdhsa_user_sgpr_private_segment_size 0
		.amdhsa_wavefront_size32 1
		.amdhsa_uses_dynamic_stack 0
		.amdhsa_enable_private_segment 0
		.amdhsa_system_sgpr_workgroup_id_x 1
		.amdhsa_system_sgpr_workgroup_id_y 0
		.amdhsa_system_sgpr_workgroup_id_z 0
		.amdhsa_system_sgpr_workgroup_info 0
		.amdhsa_system_vgpr_workitem_id 0
		.amdhsa_next_free_vgpr 18
		.amdhsa_next_free_sgpr 23
		.amdhsa_named_barrier_count 0
		.amdhsa_reserve_vcc 1
		.amdhsa_float_round_mode_32 0
		.amdhsa_float_round_mode_16_64 0
		.amdhsa_float_denorm_mode_32 3
		.amdhsa_float_denorm_mode_16_64 3
		.amdhsa_fp16_overflow 0
		.amdhsa_memory_ordered 1
		.amdhsa_forward_progress 1
		.amdhsa_inst_pref_size 9
		.amdhsa_round_robin_scheduling 0
		.amdhsa_exception_fp_ieee_invalid_op 0
		.amdhsa_exception_fp_denorm_src 0
		.amdhsa_exception_fp_ieee_div_zero 0
		.amdhsa_exception_fp_ieee_overflow 0
		.amdhsa_exception_fp_ieee_underflow 0
		.amdhsa_exception_fp_ieee_inexact 0
		.amdhsa_exception_int_div_zero 0
	.end_amdhsa_kernel
	.section	.text._ZN9rocsparseL23check_matrix_csr_deviceILj256ELj128E21rocsparse_complex_numIfEliEEvT3_S3_T2_PKT1_PKS4_PKS3_SB_21rocsparse_index_base_22rocsparse_matrix_type_20rocsparse_fill_mode_23rocsparse_storage_mode_P22rocsparse_data_status_,"axG",@progbits,_ZN9rocsparseL23check_matrix_csr_deviceILj256ELj128E21rocsparse_complex_numIfEliEEvT3_S3_T2_PKT1_PKS4_PKS3_SB_21rocsparse_index_base_22rocsparse_matrix_type_20rocsparse_fill_mode_23rocsparse_storage_mode_P22rocsparse_data_status_,comdat
.Lfunc_end51:
	.size	_ZN9rocsparseL23check_matrix_csr_deviceILj256ELj128E21rocsparse_complex_numIfEliEEvT3_S3_T2_PKT1_PKS4_PKS3_SB_21rocsparse_index_base_22rocsparse_matrix_type_20rocsparse_fill_mode_23rocsparse_storage_mode_P22rocsparse_data_status_, .Lfunc_end51-_ZN9rocsparseL23check_matrix_csr_deviceILj256ELj128E21rocsparse_complex_numIfEliEEvT3_S3_T2_PKT1_PKS4_PKS3_SB_21rocsparse_index_base_22rocsparse_matrix_type_20rocsparse_fill_mode_23rocsparse_storage_mode_P22rocsparse_data_status_
                                        ; -- End function
	.set _ZN9rocsparseL23check_matrix_csr_deviceILj256ELj128E21rocsparse_complex_numIfEliEEvT3_S3_T2_PKT1_PKS4_PKS3_SB_21rocsparse_index_base_22rocsparse_matrix_type_20rocsparse_fill_mode_23rocsparse_storage_mode_P22rocsparse_data_status_.num_vgpr, 18
	.set _ZN9rocsparseL23check_matrix_csr_deviceILj256ELj128E21rocsparse_complex_numIfEliEEvT3_S3_T2_PKT1_PKS4_PKS3_SB_21rocsparse_index_base_22rocsparse_matrix_type_20rocsparse_fill_mode_23rocsparse_storage_mode_P22rocsparse_data_status_.num_agpr, 0
	.set _ZN9rocsparseL23check_matrix_csr_deviceILj256ELj128E21rocsparse_complex_numIfEliEEvT3_S3_T2_PKT1_PKS4_PKS3_SB_21rocsparse_index_base_22rocsparse_matrix_type_20rocsparse_fill_mode_23rocsparse_storage_mode_P22rocsparse_data_status_.numbered_sgpr, 23
	.set _ZN9rocsparseL23check_matrix_csr_deviceILj256ELj128E21rocsparse_complex_numIfEliEEvT3_S3_T2_PKT1_PKS4_PKS3_SB_21rocsparse_index_base_22rocsparse_matrix_type_20rocsparse_fill_mode_23rocsparse_storage_mode_P22rocsparse_data_status_.num_named_barrier, 0
	.set _ZN9rocsparseL23check_matrix_csr_deviceILj256ELj128E21rocsparse_complex_numIfEliEEvT3_S3_T2_PKT1_PKS4_PKS3_SB_21rocsparse_index_base_22rocsparse_matrix_type_20rocsparse_fill_mode_23rocsparse_storage_mode_P22rocsparse_data_status_.private_seg_size, 0
	.set _ZN9rocsparseL23check_matrix_csr_deviceILj256ELj128E21rocsparse_complex_numIfEliEEvT3_S3_T2_PKT1_PKS4_PKS3_SB_21rocsparse_index_base_22rocsparse_matrix_type_20rocsparse_fill_mode_23rocsparse_storage_mode_P22rocsparse_data_status_.uses_vcc, 1
	.set _ZN9rocsparseL23check_matrix_csr_deviceILj256ELj128E21rocsparse_complex_numIfEliEEvT3_S3_T2_PKT1_PKS4_PKS3_SB_21rocsparse_index_base_22rocsparse_matrix_type_20rocsparse_fill_mode_23rocsparse_storage_mode_P22rocsparse_data_status_.uses_flat_scratch, 0
	.set _ZN9rocsparseL23check_matrix_csr_deviceILj256ELj128E21rocsparse_complex_numIfEliEEvT3_S3_T2_PKT1_PKS4_PKS3_SB_21rocsparse_index_base_22rocsparse_matrix_type_20rocsparse_fill_mode_23rocsparse_storage_mode_P22rocsparse_data_status_.has_dyn_sized_stack, 0
	.set _ZN9rocsparseL23check_matrix_csr_deviceILj256ELj128E21rocsparse_complex_numIfEliEEvT3_S3_T2_PKT1_PKS4_PKS3_SB_21rocsparse_index_base_22rocsparse_matrix_type_20rocsparse_fill_mode_23rocsparse_storage_mode_P22rocsparse_data_status_.has_recursion, 0
	.set _ZN9rocsparseL23check_matrix_csr_deviceILj256ELj128E21rocsparse_complex_numIfEliEEvT3_S3_T2_PKT1_PKS4_PKS3_SB_21rocsparse_index_base_22rocsparse_matrix_type_20rocsparse_fill_mode_23rocsparse_storage_mode_P22rocsparse_data_status_.has_indirect_call, 0
	.section	.AMDGPU.csdata,"",@progbits
; Kernel info:
; codeLenInByte = 1076
; TotalNumSgprs: 25
; NumVgprs: 18
; ScratchSize: 0
; MemoryBound: 0
; FloatMode: 240
; IeeeMode: 1
; LDSByteSize: 0 bytes/workgroup (compile time only)
; SGPRBlocks: 0
; VGPRBlocks: 1
; NumSGPRsForWavesPerEU: 25
; NumVGPRsForWavesPerEU: 18
; NamedBarCnt: 0
; Occupancy: 16
; WaveLimiterHint : 0
; COMPUTE_PGM_RSRC2:SCRATCH_EN: 0
; COMPUTE_PGM_RSRC2:USER_SGPR: 2
; COMPUTE_PGM_RSRC2:TRAP_HANDLER: 0
; COMPUTE_PGM_RSRC2:TGID_X_EN: 1
; COMPUTE_PGM_RSRC2:TGID_Y_EN: 0
; COMPUTE_PGM_RSRC2:TGID_Z_EN: 0
; COMPUTE_PGM_RSRC2:TIDIG_COMP_CNT: 0
	.section	.text._ZN9rocsparseL23check_matrix_csr_deviceILj256ELj256E21rocsparse_complex_numIfEliEEvT3_S3_T2_PKT1_PKS4_PKS3_SB_21rocsparse_index_base_22rocsparse_matrix_type_20rocsparse_fill_mode_23rocsparse_storage_mode_P22rocsparse_data_status_,"axG",@progbits,_ZN9rocsparseL23check_matrix_csr_deviceILj256ELj256E21rocsparse_complex_numIfEliEEvT3_S3_T2_PKT1_PKS4_PKS3_SB_21rocsparse_index_base_22rocsparse_matrix_type_20rocsparse_fill_mode_23rocsparse_storage_mode_P22rocsparse_data_status_,comdat
	.globl	_ZN9rocsparseL23check_matrix_csr_deviceILj256ELj256E21rocsparse_complex_numIfEliEEvT3_S3_T2_PKT1_PKS4_PKS3_SB_21rocsparse_index_base_22rocsparse_matrix_type_20rocsparse_fill_mode_23rocsparse_storage_mode_P22rocsparse_data_status_ ; -- Begin function _ZN9rocsparseL23check_matrix_csr_deviceILj256ELj256E21rocsparse_complex_numIfEliEEvT3_S3_T2_PKT1_PKS4_PKS3_SB_21rocsparse_index_base_22rocsparse_matrix_type_20rocsparse_fill_mode_23rocsparse_storage_mode_P22rocsparse_data_status_
	.p2align	8
	.type	_ZN9rocsparseL23check_matrix_csr_deviceILj256ELj256E21rocsparse_complex_numIfEliEEvT3_S3_T2_PKT1_PKS4_PKS3_SB_21rocsparse_index_base_22rocsparse_matrix_type_20rocsparse_fill_mode_23rocsparse_storage_mode_P22rocsparse_data_status_,@function
_ZN9rocsparseL23check_matrix_csr_deviceILj256ELj256E21rocsparse_complex_numIfEliEEvT3_S3_T2_PKT1_PKS4_PKS3_SB_21rocsparse_index_base_22rocsparse_matrix_type_20rocsparse_fill_mode_23rocsparse_storage_mode_P22rocsparse_data_status_: ; @_ZN9rocsparseL23check_matrix_csr_deviceILj256ELj256E21rocsparse_complex_numIfEliEEvT3_S3_T2_PKT1_PKS4_PKS3_SB_21rocsparse_index_base_22rocsparse_matrix_type_20rocsparse_fill_mode_23rocsparse_storage_mode_P22rocsparse_data_status_
; %bb.0:
	s_load_b64 s[12:13], s[0:1], 0x0
	s_bfe_u32 s2, ttmp6, 0x4000c
	s_and_b32 s3, ttmp6, 15
	s_add_co_i32 s2, s2, 1
	s_getreg_b32 s4, hwreg(HW_REG_IB_STS2, 6, 4)
	s_mul_i32 s2, ttmp9, s2
	s_delay_alu instid0(SALU_CYCLE_1) | instskip(SKIP_2) | instid1(SALU_CYCLE_1)
	s_add_co_i32 s3, s3, s2
	s_cmp_eq_u32 s4, 0
	s_cselect_b32 s2, ttmp9, s3
	s_and_b32 s14, s2, 0xffffff
	s_wait_kmcnt 0x0
	s_cmp_lt_i32 s14, s12
	s_cselect_b32 s2, -1, 0
	s_delay_alu instid0(SALU_CYCLE_1)
	s_and_saveexec_b32 s3, s2
	s_cbranch_execz .LBB52_31
; %bb.1:
	s_load_b64 s[2:3], s[0:1], 0x18
	v_lshlrev_b32_e64 v1, 3, s14
	v_mov_b32_e32 v14, 3
	s_wait_kmcnt 0x0
	global_load_b128 v[6:9], v1, s[2:3]
	s_wait_xcnt 0x0
	s_load_b64 s[2:3], s[2:3], 0x0
	s_wait_loadcnt 0x0
	s_wait_kmcnt 0x0
	v_sub_nc_u64_e64 v[2:3], v[8:9], s[2:3]
	v_sub_nc_u64_e64 v[4:5], v[6:7], s[2:3]
	v_cmp_lt_i64_e64 s2, v[8:9], v[6:7]
	s_delay_alu instid0(VALU_DEP_3) | instskip(NEXT) | instid1(VALU_DEP_3)
	v_cmp_gt_i64_e32 vcc_lo, 0, v[2:3]
	v_cmp_lt_i64_e64 s3, -1, v[4:5]
	s_or_b32 s2, vcc_lo, s2
	s_delay_alu instid0(SALU_CYCLE_1) | instskip(SKIP_2) | instid1(SALU_CYCLE_1)
	s_xor_b32 s4, s2, -1
	s_mov_b32 s2, -1
	s_and_b32 s3, s3, s4
	s_and_saveexec_b32 s12, s3
	s_cbranch_execz .LBB52_29
; %bb.2:
	v_dual_mov_b32 v1, 0 :: v_dual_mov_b32 v14, 3
	s_mov_b32 s2, 0
	s_mov_b32 s15, exec_lo
	s_delay_alu instid0(VALU_DEP_1) | instskip(NEXT) | instid1(VALU_DEP_1)
	v_add_nc_u64_e32 v[0:1], v[4:5], v[0:1]
	v_cmpx_lt_u64_e64 v[0:1], v[2:3]
	s_cbranch_execz .LBB52_28
; %bb.3:
	s_clause 0x1
	s_load_b256 s[4:11], s[0:1], 0x20
	s_load_b64 s[2:3], s[0:1], 0x10
	v_lshl_add_u64 v[8:9], v[0:1], 2, -4
	s_wait_kmcnt 0x0
	s_cmp_lg_u32 s9, 0
	v_lshl_add_u64 v[10:11], v[0:1], 3, s[2:3]
	s_delay_alu instid0(VALU_DEP_2)
	v_add_nc_u64_e32 v[6:7], s[6:7], v[8:9]
	v_add_nc_u64_e32 v[8:9], s[4:5], v[8:9]
	s_cselect_b32 s9, -1, 0
	s_cmp_lg_u32 s10, 0
	v_add_nc_u64_e32 v[10:11], 4, v[10:11]
	s_cselect_b32 s4, -1, 0
	s_cmp_lg_u32 s11, 0
	s_mov_b32 s5, 0
	s_cselect_b32 s6, -1, 0
                                        ; implicit-def: $sgpr7
                                        ; implicit-def: $sgpr10
                                        ; implicit-def: $sgpr11
	s_branch .LBB52_10
.LBB52_4:                               ;   in Loop: Header=BB52_10 Depth=1
	s_or_b32 exec_lo, exec_lo, s3
	s_delay_alu instid0(SALU_CYCLE_1)
	s_or_not1_b32 s23, s2, exec_lo
	s_or_not1_b32 s2, s20, exec_lo
.LBB52_5:                               ;   in Loop: Header=BB52_10 Depth=1
	s_or_b32 exec_lo, exec_lo, s21
	s_delay_alu instid0(SALU_CYCLE_1)
	s_or_not1_b32 s3, s23, exec_lo
	s_or_not1_b32 s2, s2, exec_lo
.LBB52_6:                               ;   in Loop: Header=BB52_10 Depth=1
	s_or_b32 exec_lo, exec_lo, s19
	s_delay_alu instid0(SALU_CYCLE_1)
	s_or_not1_b32 s19, s3, exec_lo
	s_or_not1_b32 s3, s2, exec_lo
.LBB52_7:                               ;   in Loop: Header=BB52_10 Depth=1
	s_or_b32 exec_lo, exec_lo, s18
	s_delay_alu instid0(SALU_CYCLE_1)
	s_or_not1_b32 s18, s19, exec_lo
	s_or_not1_b32 s2, s3, exec_lo
.LBB52_8:                               ;   in Loop: Header=BB52_10 Depth=1
	s_or_b32 exec_lo, exec_lo, s17
	s_delay_alu instid0(SALU_CYCLE_1)
	s_and_not1_b32 s3, s11, exec_lo
	s_and_b32 s11, s18, exec_lo
	s_and_not1_b32 s10, s10, exec_lo
	s_and_b32 s2, s2, exec_lo
	s_or_b32 s11, s3, s11
	s_or_b32 s10, s10, s2
.LBB52_9:                               ;   in Loop: Header=BB52_10 Depth=1
	s_or_b32 exec_lo, exec_lo, s16
	s_delay_alu instid0(SALU_CYCLE_1) | instskip(NEXT) | instid1(SALU_CYCLE_1)
	s_and_b32 s2, exec_lo, s10
	s_or_b32 s5, s2, s5
	s_and_not1_b32 s2, s7, exec_lo
	s_and_b32 s3, s11, exec_lo
	s_delay_alu instid0(SALU_CYCLE_1)
	s_or_b32 s7, s2, s3
	s_and_not1_b32 exec_lo, exec_lo, s5
	s_cbranch_execz .LBB52_27
.LBB52_10:                              ; =>This Inner Loop Header: Depth=1
	global_load_b32 v15, v[8:9], off offset:4
	v_mov_b32_e32 v14, 4
	s_or_b32 s11, s11, exec_lo
	s_or_b32 s10, s10, exec_lo
	s_wait_loadcnt 0x0
	v_subrev_nc_u32_e32 v16, s8, v15
	s_delay_alu instid0(VALU_DEP_1) | instskip(SKIP_2) | instid1(SALU_CYCLE_1)
	v_cmp_lt_i32_e32 vcc_lo, -1, v16
	v_cmp_gt_i32_e64 s2, s13, v16
	s_and_b32 s2, vcc_lo, s2
	s_and_saveexec_b32 s16, s2
	s_cbranch_execz .LBB52_9
; %bb.11:                               ;   in Loop: Header=BB52_10 Depth=1
	v_cmp_le_i64_e64 s20, v[0:1], v[4:5]
	v_mov_b32_e32 v14, 4
	s_mov_b32 s17, exec_lo
	s_mov_b32 s3, s20
	v_cmpx_gt_i64_e64 v[0:1], v[4:5]
	s_cbranch_execz .LBB52_13
; %bb.12:                               ;   in Loop: Header=BB52_10 Depth=1
	global_load_b64 v[12:13], v[6:7], off
	s_wait_loadcnt 0x0
	v_subrev_nc_u32_e32 v14, s8, v12
	v_cmp_ne_u32_e64 s3, v13, v12
	s_delay_alu instid0(VALU_DEP_2) | instskip(SKIP_3) | instid1(SALU_CYCLE_1)
	v_cmp_lt_i32_e32 vcc_lo, -1, v14
	v_cmp_gt_i32_e64 s2, s13, v14
	v_mov_b32_e32 v14, 5
	s_and_b32 s2, vcc_lo, s2
	s_xor_b32 s2, s2, -1
	s_delay_alu instid0(SALU_CYCLE_1) | instskip(SKIP_2) | instid1(SALU_CYCLE_1)
	s_or_b32 s2, s3, s2
	s_and_not1_b32 s3, s20, exec_lo
	s_and_b32 s2, s2, exec_lo
	s_or_b32 s3, s3, s2
.LBB52_13:                              ;   in Loop: Header=BB52_10 Depth=1
	s_or_b32 exec_lo, exec_lo, s17
	s_mov_b32 s2, -1
	s_mov_b32 s18, -1
	s_and_saveexec_b32 s17, s3
	s_cbranch_execz .LBB52_8
; %bb.14:                               ;   in Loop: Header=BB52_10 Depth=1
	global_load_b64 v[12:13], v[10:11], off offset:-4
	v_mov_b32_e32 v14, 1
	s_mov_b32 s3, -1
	s_mov_b32 s19, -1
	s_wait_loadcnt 0x0
	v_cmp_neq_f32_e32 vcc_lo, 0x7f800000, v12
	v_cmp_neq_f32_e64 s2, 0x7f800000, v13
	s_and_b32 s2, vcc_lo, s2
	s_delay_alu instid0(SALU_CYCLE_1)
	s_and_saveexec_b32 s18, s2
	s_cbranch_execz .LBB52_7
; %bb.15:                               ;   in Loop: Header=BB52_10 Depth=1
	v_mov_b32_e32 v14, 2
	s_mov_b32 s2, -1
	s_mov_b32 s19, exec_lo
	v_cmpx_o_f32_e32 v12, v13
	s_cbranch_execz .LBB52_6
; %bb.16:                               ;   in Loop: Header=BB52_10 Depth=1
	s_and_b32 vcc_lo, exec_lo, s9
	s_cbranch_vccz .LBB52_19
; %bb.17:                               ;   in Loop: Header=BB52_10 Depth=1
	s_and_b32 vcc_lo, exec_lo, s4
	s_cbranch_vccz .LBB52_20
; %bb.18:                               ;   in Loop: Header=BB52_10 Depth=1
	v_cmp_le_i32_e32 vcc_lo, s14, v16
	s_mov_b32 s3, 7
	s_and_b32 s22, vcc_lo, exec_lo
	s_cbranch_execz .LBB52_21
	s_branch .LBB52_22
.LBB52_19:                              ;   in Loop: Header=BB52_10 Depth=1
	s_mov_b32 s3, 2
	s_mov_b32 s22, -1
	s_branch .LBB52_22
.LBB52_20:                              ;   in Loop: Header=BB52_10 Depth=1
	s_mov_b32 s22, 0
	s_mov_b32 s3, 2
.LBB52_21:                              ;   in Loop: Header=BB52_10 Depth=1
	v_cmp_ge_i32_e32 vcc_lo, s14, v16
	s_and_not1_b32 s21, s22, exec_lo
	s_mov_b32 s3, 7
	s_and_b32 s22, vcc_lo, exec_lo
	s_delay_alu instid0(SALU_CYCLE_1)
	s_or_b32 s22, s21, s22
.LBB52_22:                              ;   in Loop: Header=BB52_10 Depth=1
	v_mov_b32_e32 v14, s3
	s_mov_b32 s23, -1
	s_and_saveexec_b32 s21, s22
	s_cbranch_execz .LBB52_5
; %bb.23:                               ;   in Loop: Header=BB52_10 Depth=1
	v_mov_b32_e32 v14, s3
	s_nor_b32 s2, s6, s20
	s_mov_b32 s20, -1
	s_and_saveexec_b32 s22, s2
	s_cbranch_execz .LBB52_25
; %bb.24:                               ;   in Loop: Header=BB52_10 Depth=1
	global_load_b32 v12, v[8:9], off
	v_mov_b32_e32 v14, 6
	s_wait_loadcnt 0x0
	v_subrev_nc_u32_e32 v13, s8, v12
	v_cmp_gt_i32_e64 s3, v15, v12
	s_delay_alu instid0(VALU_DEP_2) | instskip(SKIP_2) | instid1(SALU_CYCLE_1)
	v_cmp_lt_i32_e32 vcc_lo, -1, v13
	v_cmp_gt_i32_e64 s2, s13, v13
	s_and_b32 s2, vcc_lo, s2
	s_xor_b32 s2, s2, -1
	s_delay_alu instid0(SALU_CYCLE_1) | instskip(NEXT) | instid1(SALU_CYCLE_1)
	s_or_b32 s2, s3, s2
	s_or_not1_b32 s23, s2, exec_lo
.LBB52_25:                              ;   in Loop: Header=BB52_10 Depth=1
	s_or_b32 exec_lo, exec_lo, s22
	s_mov_b32 s2, -1
	s_and_saveexec_b32 s3, s23
	s_cbranch_execz .LBB52_4
; %bb.26:                               ;   in Loop: Header=BB52_10 Depth=1
	v_add_nc_u64_e32 v[0:1], 0x100, v[0:1]
	v_add_nc_u64_e32 v[6:7], 0x400, v[6:7]
	;; [unrolled: 1-line block ×4, first 2 shown]
	s_xor_b32 s2, exec_lo, -1
	s_delay_alu instid0(VALU_DEP_4)
	v_cmp_ge_i64_e32 vcc_lo, v[0:1], v[2:3]
	s_or_not1_b32 s20, vcc_lo, exec_lo
	s_branch .LBB52_4
.LBB52_27:
	s_or_b32 exec_lo, exec_lo, s5
	s_delay_alu instid0(SALU_CYCLE_1)
	s_and_b32 s2, s7, exec_lo
.LBB52_28:
	s_or_b32 exec_lo, exec_lo, s15
	s_delay_alu instid0(SALU_CYCLE_1)
	s_or_not1_b32 s2, s2, exec_lo
.LBB52_29:
	s_or_b32 exec_lo, exec_lo, s12
	s_delay_alu instid0(SALU_CYCLE_1)
	s_and_b32 exec_lo, exec_lo, s2
	s_cbranch_execz .LBB52_31
; %bb.30:
	s_load_b64 s[0:1], s[0:1], 0x40
	v_mov_b32_e32 v0, 0
	s_wait_kmcnt 0x0
	global_store_b32 v0, v14, s[0:1]
.LBB52_31:
	s_endpgm
	.section	.rodata,"a",@progbits
	.p2align	6, 0x0
	.amdhsa_kernel _ZN9rocsparseL23check_matrix_csr_deviceILj256ELj256E21rocsparse_complex_numIfEliEEvT3_S3_T2_PKT1_PKS4_PKS3_SB_21rocsparse_index_base_22rocsparse_matrix_type_20rocsparse_fill_mode_23rocsparse_storage_mode_P22rocsparse_data_status_
		.amdhsa_group_segment_fixed_size 0
		.amdhsa_private_segment_fixed_size 0
		.amdhsa_kernarg_size 72
		.amdhsa_user_sgpr_count 2
		.amdhsa_user_sgpr_dispatch_ptr 0
		.amdhsa_user_sgpr_queue_ptr 0
		.amdhsa_user_sgpr_kernarg_segment_ptr 1
		.amdhsa_user_sgpr_dispatch_id 0
		.amdhsa_user_sgpr_kernarg_preload_length 0
		.amdhsa_user_sgpr_kernarg_preload_offset 0
		.amdhsa_user_sgpr_private_segment_size 0
		.amdhsa_wavefront_size32 1
		.amdhsa_uses_dynamic_stack 0
		.amdhsa_enable_private_segment 0
		.amdhsa_system_sgpr_workgroup_id_x 1
		.amdhsa_system_sgpr_workgroup_id_y 0
		.amdhsa_system_sgpr_workgroup_id_z 0
		.amdhsa_system_sgpr_workgroup_info 0
		.amdhsa_system_vgpr_workitem_id 0
		.amdhsa_next_free_vgpr 17
		.amdhsa_next_free_sgpr 24
		.amdhsa_named_barrier_count 0
		.amdhsa_reserve_vcc 1
		.amdhsa_float_round_mode_32 0
		.amdhsa_float_round_mode_16_64 0
		.amdhsa_float_denorm_mode_32 3
		.amdhsa_float_denorm_mode_16_64 3
		.amdhsa_fp16_overflow 0
		.amdhsa_memory_ordered 1
		.amdhsa_forward_progress 1
		.amdhsa_inst_pref_size 9
		.amdhsa_round_robin_scheduling 0
		.amdhsa_exception_fp_ieee_invalid_op 0
		.amdhsa_exception_fp_denorm_src 0
		.amdhsa_exception_fp_ieee_div_zero 0
		.amdhsa_exception_fp_ieee_overflow 0
		.amdhsa_exception_fp_ieee_underflow 0
		.amdhsa_exception_fp_ieee_inexact 0
		.amdhsa_exception_int_div_zero 0
	.end_amdhsa_kernel
	.section	.text._ZN9rocsparseL23check_matrix_csr_deviceILj256ELj256E21rocsparse_complex_numIfEliEEvT3_S3_T2_PKT1_PKS4_PKS3_SB_21rocsparse_index_base_22rocsparse_matrix_type_20rocsparse_fill_mode_23rocsparse_storage_mode_P22rocsparse_data_status_,"axG",@progbits,_ZN9rocsparseL23check_matrix_csr_deviceILj256ELj256E21rocsparse_complex_numIfEliEEvT3_S3_T2_PKT1_PKS4_PKS3_SB_21rocsparse_index_base_22rocsparse_matrix_type_20rocsparse_fill_mode_23rocsparse_storage_mode_P22rocsparse_data_status_,comdat
.Lfunc_end52:
	.size	_ZN9rocsparseL23check_matrix_csr_deviceILj256ELj256E21rocsparse_complex_numIfEliEEvT3_S3_T2_PKT1_PKS4_PKS3_SB_21rocsparse_index_base_22rocsparse_matrix_type_20rocsparse_fill_mode_23rocsparse_storage_mode_P22rocsparse_data_status_, .Lfunc_end52-_ZN9rocsparseL23check_matrix_csr_deviceILj256ELj256E21rocsparse_complex_numIfEliEEvT3_S3_T2_PKT1_PKS4_PKS3_SB_21rocsparse_index_base_22rocsparse_matrix_type_20rocsparse_fill_mode_23rocsparse_storage_mode_P22rocsparse_data_status_
                                        ; -- End function
	.set _ZN9rocsparseL23check_matrix_csr_deviceILj256ELj256E21rocsparse_complex_numIfEliEEvT3_S3_T2_PKT1_PKS4_PKS3_SB_21rocsparse_index_base_22rocsparse_matrix_type_20rocsparse_fill_mode_23rocsparse_storage_mode_P22rocsparse_data_status_.num_vgpr, 17
	.set _ZN9rocsparseL23check_matrix_csr_deviceILj256ELj256E21rocsparse_complex_numIfEliEEvT3_S3_T2_PKT1_PKS4_PKS3_SB_21rocsparse_index_base_22rocsparse_matrix_type_20rocsparse_fill_mode_23rocsparse_storage_mode_P22rocsparse_data_status_.num_agpr, 0
	.set _ZN9rocsparseL23check_matrix_csr_deviceILj256ELj256E21rocsparse_complex_numIfEliEEvT3_S3_T2_PKT1_PKS4_PKS3_SB_21rocsparse_index_base_22rocsparse_matrix_type_20rocsparse_fill_mode_23rocsparse_storage_mode_P22rocsparse_data_status_.numbered_sgpr, 24
	.set _ZN9rocsparseL23check_matrix_csr_deviceILj256ELj256E21rocsparse_complex_numIfEliEEvT3_S3_T2_PKT1_PKS4_PKS3_SB_21rocsparse_index_base_22rocsparse_matrix_type_20rocsparse_fill_mode_23rocsparse_storage_mode_P22rocsparse_data_status_.num_named_barrier, 0
	.set _ZN9rocsparseL23check_matrix_csr_deviceILj256ELj256E21rocsparse_complex_numIfEliEEvT3_S3_T2_PKT1_PKS4_PKS3_SB_21rocsparse_index_base_22rocsparse_matrix_type_20rocsparse_fill_mode_23rocsparse_storage_mode_P22rocsparse_data_status_.private_seg_size, 0
	.set _ZN9rocsparseL23check_matrix_csr_deviceILj256ELj256E21rocsparse_complex_numIfEliEEvT3_S3_T2_PKT1_PKS4_PKS3_SB_21rocsparse_index_base_22rocsparse_matrix_type_20rocsparse_fill_mode_23rocsparse_storage_mode_P22rocsparse_data_status_.uses_vcc, 1
	.set _ZN9rocsparseL23check_matrix_csr_deviceILj256ELj256E21rocsparse_complex_numIfEliEEvT3_S3_T2_PKT1_PKS4_PKS3_SB_21rocsparse_index_base_22rocsparse_matrix_type_20rocsparse_fill_mode_23rocsparse_storage_mode_P22rocsparse_data_status_.uses_flat_scratch, 0
	.set _ZN9rocsparseL23check_matrix_csr_deviceILj256ELj256E21rocsparse_complex_numIfEliEEvT3_S3_T2_PKT1_PKS4_PKS3_SB_21rocsparse_index_base_22rocsparse_matrix_type_20rocsparse_fill_mode_23rocsparse_storage_mode_P22rocsparse_data_status_.has_dyn_sized_stack, 0
	.set _ZN9rocsparseL23check_matrix_csr_deviceILj256ELj256E21rocsparse_complex_numIfEliEEvT3_S3_T2_PKT1_PKS4_PKS3_SB_21rocsparse_index_base_22rocsparse_matrix_type_20rocsparse_fill_mode_23rocsparse_storage_mode_P22rocsparse_data_status_.has_recursion, 0
	.set _ZN9rocsparseL23check_matrix_csr_deviceILj256ELj256E21rocsparse_complex_numIfEliEEvT3_S3_T2_PKT1_PKS4_PKS3_SB_21rocsparse_index_base_22rocsparse_matrix_type_20rocsparse_fill_mode_23rocsparse_storage_mode_P22rocsparse_data_status_.has_indirect_call, 0
	.section	.AMDGPU.csdata,"",@progbits
; Kernel info:
; codeLenInByte = 1060
; TotalNumSgprs: 26
; NumVgprs: 17
; ScratchSize: 0
; MemoryBound: 0
; FloatMode: 240
; IeeeMode: 1
; LDSByteSize: 0 bytes/workgroup (compile time only)
; SGPRBlocks: 0
; VGPRBlocks: 1
; NumSGPRsForWavesPerEU: 26
; NumVGPRsForWavesPerEU: 17
; NamedBarCnt: 0
; Occupancy: 16
; WaveLimiterHint : 0
; COMPUTE_PGM_RSRC2:SCRATCH_EN: 0
; COMPUTE_PGM_RSRC2:USER_SGPR: 2
; COMPUTE_PGM_RSRC2:TRAP_HANDLER: 0
; COMPUTE_PGM_RSRC2:TGID_X_EN: 1
; COMPUTE_PGM_RSRC2:TGID_Y_EN: 0
; COMPUTE_PGM_RSRC2:TGID_Z_EN: 0
; COMPUTE_PGM_RSRC2:TIDIG_COMP_CNT: 0
	.section	.text._ZN9rocsparseL23check_matrix_csr_deviceILj256ELj4E21rocsparse_complex_numIdEliEEvT3_S3_T2_PKT1_PKS4_PKS3_SB_21rocsparse_index_base_22rocsparse_matrix_type_20rocsparse_fill_mode_23rocsparse_storage_mode_P22rocsparse_data_status_,"axG",@progbits,_ZN9rocsparseL23check_matrix_csr_deviceILj256ELj4E21rocsparse_complex_numIdEliEEvT3_S3_T2_PKT1_PKS4_PKS3_SB_21rocsparse_index_base_22rocsparse_matrix_type_20rocsparse_fill_mode_23rocsparse_storage_mode_P22rocsparse_data_status_,comdat
	.globl	_ZN9rocsparseL23check_matrix_csr_deviceILj256ELj4E21rocsparse_complex_numIdEliEEvT3_S3_T2_PKT1_PKS4_PKS3_SB_21rocsparse_index_base_22rocsparse_matrix_type_20rocsparse_fill_mode_23rocsparse_storage_mode_P22rocsparse_data_status_ ; -- Begin function _ZN9rocsparseL23check_matrix_csr_deviceILj256ELj4E21rocsparse_complex_numIdEliEEvT3_S3_T2_PKT1_PKS4_PKS3_SB_21rocsparse_index_base_22rocsparse_matrix_type_20rocsparse_fill_mode_23rocsparse_storage_mode_P22rocsparse_data_status_
	.p2align	8
	.type	_ZN9rocsparseL23check_matrix_csr_deviceILj256ELj4E21rocsparse_complex_numIdEliEEvT3_S3_T2_PKT1_PKS4_PKS3_SB_21rocsparse_index_base_22rocsparse_matrix_type_20rocsparse_fill_mode_23rocsparse_storage_mode_P22rocsparse_data_status_,@function
_ZN9rocsparseL23check_matrix_csr_deviceILj256ELj4E21rocsparse_complex_numIdEliEEvT3_S3_T2_PKT1_PKS4_PKS3_SB_21rocsparse_index_base_22rocsparse_matrix_type_20rocsparse_fill_mode_23rocsparse_storage_mode_P22rocsparse_data_status_: ; @_ZN9rocsparseL23check_matrix_csr_deviceILj256ELj4E21rocsparse_complex_numIdEliEEvT3_S3_T2_PKT1_PKS4_PKS3_SB_21rocsparse_index_base_22rocsparse_matrix_type_20rocsparse_fill_mode_23rocsparse_storage_mode_P22rocsparse_data_status_
; %bb.0:
	s_bfe_u32 s2, ttmp6, 0x4000c
	s_load_b64 s[12:13], s[0:1], 0x0
	s_add_co_i32 s2, s2, 1
	s_and_b32 s3, ttmp6, 15
	s_mul_i32 s2, ttmp9, s2
	s_getreg_b32 s4, hwreg(HW_REG_IB_STS2, 6, 4)
	s_add_co_i32 s3, s3, s2
	s_cmp_eq_u32 s4, 0
	s_cselect_b32 s2, ttmp9, s3
	s_delay_alu instid0(SALU_CYCLE_1) | instskip(SKIP_1) | instid1(VALU_DEP_1)
	v_lshl_or_b32 v1, s2, 8, v0
	s_mov_b32 s2, exec_lo
	v_lshrrev_b32_e32 v4, 2, v1
	s_wait_kmcnt 0x0
	s_delay_alu instid0(VALU_DEP_1)
	v_cmpx_gt_i32_e64 s12, v4
	s_cbranch_execz .LBB53_31
; %bb.1:
	s_load_b64 s[2:3], s[0:1], 0x18
	v_dual_mov_b32 v5, 0 :: v_dual_mov_b32 v18, 3
	s_wait_kmcnt 0x0
	s_delay_alu instid0(VALU_DEP_1)
	v_lshl_add_u64 v[2:3], v[4:5], 3, s[2:3]
	s_load_b64 s[2:3], s[2:3], 0x0
	global_load_b128 v[10:13], v[2:3], off
	s_wait_loadcnt 0x0
	s_wait_kmcnt 0x0
	v_sub_nc_u64_e64 v[6:7], v[12:13], s[2:3]
	v_sub_nc_u64_e64 v[8:9], v[10:11], s[2:3]
	v_cmp_lt_i64_e64 s2, v[12:13], v[10:11]
	s_delay_alu instid0(VALU_DEP_3) | instskip(NEXT) | instid1(VALU_DEP_3)
	v_cmp_gt_i64_e32 vcc_lo, 0, v[6:7]
	v_cmp_lt_i64_e64 s3, -1, v[8:9]
	s_or_b32 s2, vcc_lo, s2
	s_delay_alu instid0(SALU_CYCLE_1) | instskip(SKIP_2) | instid1(SALU_CYCLE_1)
	s_xor_b32 s4, s2, -1
	s_mov_b32 s2, -1
	s_and_b32 s3, s3, s4
	s_and_saveexec_b32 s12, s3
	s_cbranch_execz .LBB53_29
; %bb.2:
	v_dual_mov_b32 v1, v5 :: v_dual_bitop2_b32 v0, 3, v0 bitop3:0x40
	v_mov_b32_e32 v18, 3
	s_mov_b32 s2, 0
	s_mov_b32 s14, exec_lo
	s_delay_alu instid0(VALU_DEP_2) | instskip(NEXT) | instid1(VALU_DEP_1)
	v_add_nc_u64_e32 v[10:11], v[8:9], v[0:1]
	v_cmpx_lt_u64_e64 v[10:11], v[6:7]
	s_cbranch_execz .LBB53_28
; %bb.3:
	s_clause 0x1
	s_load_b256 s[4:11], s[0:1], 0x20
	s_load_b64 s[2:3], s[0:1], 0x10
	v_lshl_add_u64 v[0:1], v[10:11], 2, -4
	s_wait_kmcnt 0x0
	s_cmp_lg_u32 s9, 0
	v_lshl_add_u64 v[2:3], v[10:11], 4, s[2:3]
	s_delay_alu instid0(VALU_DEP_2)
	v_add_nc_u64_e32 v[12:13], s[6:7], v[0:1]
	v_add_nc_u64_e32 v[14:15], s[4:5], v[0:1]
	s_cselect_b32 s9, -1, 0
	s_cmp_lg_u32 s10, 0
	v_add_nc_u64_e32 v[16:17], 8, v[2:3]
	s_cselect_b32 s4, -1, 0
	s_cmp_lg_u32 s11, 0
	s_mov_b32 s5, 0
	s_cselect_b32 s6, -1, 0
                                        ; implicit-def: $sgpr7
                                        ; implicit-def: $sgpr10
                                        ; implicit-def: $sgpr11
	s_branch .LBB53_10
.LBB53_4:                               ;   in Loop: Header=BB53_10 Depth=1
	s_or_b32 exec_lo, exec_lo, s3
	s_delay_alu instid0(SALU_CYCLE_1)
	s_or_not1_b32 s22, s2, exec_lo
	s_or_not1_b32 s2, s19, exec_lo
.LBB53_5:                               ;   in Loop: Header=BB53_10 Depth=1
	s_or_b32 exec_lo, exec_lo, s20
	s_delay_alu instid0(SALU_CYCLE_1)
	s_or_not1_b32 s3, s22, exec_lo
	s_or_not1_b32 s2, s2, exec_lo
.LBB53_6:                               ;   in Loop: Header=BB53_10 Depth=1
	s_or_b32 exec_lo, exec_lo, s18
	s_delay_alu instid0(SALU_CYCLE_1)
	s_or_not1_b32 s18, s3, exec_lo
	s_or_not1_b32 s3, s2, exec_lo
.LBB53_7:                               ;   in Loop: Header=BB53_10 Depth=1
	s_or_b32 exec_lo, exec_lo, s17
	s_delay_alu instid0(SALU_CYCLE_1)
	s_or_not1_b32 s17, s18, exec_lo
	s_or_not1_b32 s2, s3, exec_lo
.LBB53_8:                               ;   in Loop: Header=BB53_10 Depth=1
	s_or_b32 exec_lo, exec_lo, s16
	s_delay_alu instid0(SALU_CYCLE_1)
	s_and_not1_b32 s3, s11, exec_lo
	s_and_b32 s11, s17, exec_lo
	s_and_not1_b32 s10, s10, exec_lo
	s_and_b32 s2, s2, exec_lo
	s_or_b32 s11, s3, s11
	s_or_b32 s10, s10, s2
.LBB53_9:                               ;   in Loop: Header=BB53_10 Depth=1
	s_or_b32 exec_lo, exec_lo, s15
	s_delay_alu instid0(SALU_CYCLE_1) | instskip(NEXT) | instid1(SALU_CYCLE_1)
	s_and_b32 s2, exec_lo, s10
	s_or_b32 s5, s2, s5
	s_and_not1_b32 s2, s7, exec_lo
	s_and_b32 s3, s11, exec_lo
	s_delay_alu instid0(SALU_CYCLE_1)
	s_or_b32 s7, s2, s3
	s_and_not1_b32 exec_lo, exec_lo, s5
	s_cbranch_execz .LBB53_27
.LBB53_10:                              ; =>This Inner Loop Header: Depth=1
	global_load_b32 v5, v[14:15], off offset:4
	v_mov_b32_e32 v18, 4
	s_or_b32 s11, s11, exec_lo
	s_or_b32 s10, s10, exec_lo
	s_wait_loadcnt 0x0
	v_subrev_nc_u32_e32 v19, s8, v5
	s_delay_alu instid0(VALU_DEP_1) | instskip(SKIP_2) | instid1(SALU_CYCLE_1)
	v_cmp_lt_i32_e32 vcc_lo, -1, v19
	v_cmp_gt_i32_e64 s2, s13, v19
	s_and_b32 s2, vcc_lo, s2
	s_and_saveexec_b32 s15, s2
	s_cbranch_execz .LBB53_9
; %bb.11:                               ;   in Loop: Header=BB53_10 Depth=1
	v_cmp_le_i64_e64 s19, v[10:11], v[8:9]
	v_mov_b32_e32 v18, 4
	s_mov_b32 s16, exec_lo
	s_mov_b32 s3, s19
	v_cmpx_gt_i64_e64 v[10:11], v[8:9]
	s_cbranch_execz .LBB53_13
; %bb.12:                               ;   in Loop: Header=BB53_10 Depth=1
	global_load_b64 v[0:1], v[12:13], off
	v_mov_b32_e32 v18, 5
	s_wait_loadcnt 0x0
	v_subrev_nc_u32_e32 v2, s8, v0
	v_cmp_ne_u32_e64 s3, v1, v0
	s_delay_alu instid0(VALU_DEP_2) | instskip(SKIP_2) | instid1(SALU_CYCLE_1)
	v_cmp_lt_i32_e32 vcc_lo, -1, v2
	v_cmp_gt_i32_e64 s2, s13, v2
	s_and_b32 s2, vcc_lo, s2
	s_xor_b32 s2, s2, -1
	s_delay_alu instid0(SALU_CYCLE_1) | instskip(SKIP_2) | instid1(SALU_CYCLE_1)
	s_or_b32 s2, s3, s2
	s_and_not1_b32 s3, s19, exec_lo
	s_and_b32 s2, s2, exec_lo
	s_or_b32 s3, s3, s2
.LBB53_13:                              ;   in Loop: Header=BB53_10 Depth=1
	s_or_b32 exec_lo, exec_lo, s16
	s_mov_b32 s2, -1
	s_mov_b32 s17, -1
	s_and_saveexec_b32 s16, s3
	s_cbranch_execz .LBB53_8
; %bb.14:                               ;   in Loop: Header=BB53_10 Depth=1
	global_load_b128 v[0:3], v[16:17], off offset:-8
	v_mov_b32_e32 v18, 1
	s_mov_b32 s3, -1
	s_mov_b32 s18, -1
	s_wait_loadcnt 0x0
	v_cmp_neq_f64_e32 vcc_lo, 0x7ff00000, v[0:1]
	v_cmp_neq_f64_e64 s2, 0x7ff00000, v[2:3]
	s_and_b32 s2, vcc_lo, s2
	s_delay_alu instid0(SALU_CYCLE_1)
	s_and_saveexec_b32 s17, s2
	s_cbranch_execz .LBB53_7
; %bb.15:                               ;   in Loop: Header=BB53_10 Depth=1
	v_mov_b32_e32 v18, 2
	s_mov_b32 s2, -1
	s_mov_b32 s18, exec_lo
	v_cmpx_o_f64_e32 v[0:1], v[2:3]
	s_cbranch_execz .LBB53_6
; %bb.16:                               ;   in Loop: Header=BB53_10 Depth=1
	s_and_b32 vcc_lo, exec_lo, s9
	s_cbranch_vccz .LBB53_19
; %bb.17:                               ;   in Loop: Header=BB53_10 Depth=1
	s_and_b32 vcc_lo, exec_lo, s4
	s_cbranch_vccz .LBB53_20
; %bb.18:                               ;   in Loop: Header=BB53_10 Depth=1
	v_cmp_le_i32_e32 vcc_lo, v4, v19
	s_mov_b32 s3, 7
	s_and_b32 s21, vcc_lo, exec_lo
	s_cbranch_execz .LBB53_21
	s_branch .LBB53_22
.LBB53_19:                              ;   in Loop: Header=BB53_10 Depth=1
	s_mov_b32 s3, 2
	s_mov_b32 s21, -1
	s_branch .LBB53_22
.LBB53_20:                              ;   in Loop: Header=BB53_10 Depth=1
	s_mov_b32 s21, 0
	s_mov_b32 s3, 2
.LBB53_21:                              ;   in Loop: Header=BB53_10 Depth=1
	v_cmp_ge_i32_e32 vcc_lo, v4, v19
	s_and_not1_b32 s20, s21, exec_lo
	s_mov_b32 s3, 7
	s_and_b32 s21, vcc_lo, exec_lo
	s_delay_alu instid0(SALU_CYCLE_1)
	s_or_b32 s21, s20, s21
.LBB53_22:                              ;   in Loop: Header=BB53_10 Depth=1
	v_mov_b32_e32 v18, s3
	s_mov_b32 s22, -1
	s_and_saveexec_b32 s20, s21
	s_cbranch_execz .LBB53_5
; %bb.23:                               ;   in Loop: Header=BB53_10 Depth=1
	v_mov_b32_e32 v18, s3
	s_nor_b32 s2, s6, s19
	s_mov_b32 s19, -1
	s_and_saveexec_b32 s21, s2
	s_cbranch_execz .LBB53_25
; %bb.24:                               ;   in Loop: Header=BB53_10 Depth=1
	global_load_b32 v0, v[14:15], off
	v_mov_b32_e32 v18, 6
	s_wait_loadcnt 0x0
	v_subrev_nc_u32_e32 v1, s8, v0
	v_cmp_gt_i32_e64 s3, v5, v0
	s_delay_alu instid0(VALU_DEP_2) | instskip(SKIP_2) | instid1(SALU_CYCLE_1)
	v_cmp_lt_i32_e32 vcc_lo, -1, v1
	v_cmp_gt_i32_e64 s2, s13, v1
	s_and_b32 s2, vcc_lo, s2
	s_xor_b32 s2, s2, -1
	s_delay_alu instid0(SALU_CYCLE_1) | instskip(NEXT) | instid1(SALU_CYCLE_1)
	s_or_b32 s2, s3, s2
	s_or_not1_b32 s22, s2, exec_lo
.LBB53_25:                              ;   in Loop: Header=BB53_10 Depth=1
	s_or_b32 exec_lo, exec_lo, s21
	s_mov_b32 s2, -1
	s_and_saveexec_b32 s3, s22
	s_cbranch_execz .LBB53_4
; %bb.26:                               ;   in Loop: Header=BB53_10 Depth=1
	v_add_nc_u64_e32 v[10:11], 4, v[10:11]
	v_add_nc_u64_e32 v[12:13], 16, v[12:13]
	;; [unrolled: 1-line block ×4, first 2 shown]
	s_xor_b32 s2, exec_lo, -1
	s_delay_alu instid0(VALU_DEP_4)
	v_cmp_ge_i64_e32 vcc_lo, v[10:11], v[6:7]
	s_or_not1_b32 s19, vcc_lo, exec_lo
	s_branch .LBB53_4
.LBB53_27:
	s_or_b32 exec_lo, exec_lo, s5
	s_delay_alu instid0(SALU_CYCLE_1)
	s_and_b32 s2, s7, exec_lo
.LBB53_28:
	s_or_b32 exec_lo, exec_lo, s14
	s_delay_alu instid0(SALU_CYCLE_1)
	s_or_not1_b32 s2, s2, exec_lo
.LBB53_29:
	s_or_b32 exec_lo, exec_lo, s12
	s_delay_alu instid0(SALU_CYCLE_1)
	s_and_b32 exec_lo, exec_lo, s2
	s_cbranch_execz .LBB53_31
; %bb.30:
	s_load_b64 s[0:1], s[0:1], 0x40
	v_mov_b32_e32 v0, 0
	s_wait_kmcnt 0x0
	global_store_b32 v0, v18, s[0:1]
.LBB53_31:
	s_endpgm
	.section	.rodata,"a",@progbits
	.p2align	6, 0x0
	.amdhsa_kernel _ZN9rocsparseL23check_matrix_csr_deviceILj256ELj4E21rocsparse_complex_numIdEliEEvT3_S3_T2_PKT1_PKS4_PKS3_SB_21rocsparse_index_base_22rocsparse_matrix_type_20rocsparse_fill_mode_23rocsparse_storage_mode_P22rocsparse_data_status_
		.amdhsa_group_segment_fixed_size 0
		.amdhsa_private_segment_fixed_size 0
		.amdhsa_kernarg_size 72
		.amdhsa_user_sgpr_count 2
		.amdhsa_user_sgpr_dispatch_ptr 0
		.amdhsa_user_sgpr_queue_ptr 0
		.amdhsa_user_sgpr_kernarg_segment_ptr 1
		.amdhsa_user_sgpr_dispatch_id 0
		.amdhsa_user_sgpr_kernarg_preload_length 0
		.amdhsa_user_sgpr_kernarg_preload_offset 0
		.amdhsa_user_sgpr_private_segment_size 0
		.amdhsa_wavefront_size32 1
		.amdhsa_uses_dynamic_stack 0
		.amdhsa_enable_private_segment 0
		.amdhsa_system_sgpr_workgroup_id_x 1
		.amdhsa_system_sgpr_workgroup_id_y 0
		.amdhsa_system_sgpr_workgroup_id_z 0
		.amdhsa_system_sgpr_workgroup_info 0
		.amdhsa_system_vgpr_workitem_id 0
		.amdhsa_next_free_vgpr 20
		.amdhsa_next_free_sgpr 23
		.amdhsa_named_barrier_count 0
		.amdhsa_reserve_vcc 1
		.amdhsa_float_round_mode_32 0
		.amdhsa_float_round_mode_16_64 0
		.amdhsa_float_denorm_mode_32 3
		.amdhsa_float_denorm_mode_16_64 3
		.amdhsa_fp16_overflow 0
		.amdhsa_memory_ordered 1
		.amdhsa_forward_progress 1
		.amdhsa_inst_pref_size 9
		.amdhsa_round_robin_scheduling 0
		.amdhsa_exception_fp_ieee_invalid_op 0
		.amdhsa_exception_fp_denorm_src 0
		.amdhsa_exception_fp_ieee_div_zero 0
		.amdhsa_exception_fp_ieee_overflow 0
		.amdhsa_exception_fp_ieee_underflow 0
		.amdhsa_exception_fp_ieee_inexact 0
		.amdhsa_exception_int_div_zero 0
	.end_amdhsa_kernel
	.section	.text._ZN9rocsparseL23check_matrix_csr_deviceILj256ELj4E21rocsparse_complex_numIdEliEEvT3_S3_T2_PKT1_PKS4_PKS3_SB_21rocsparse_index_base_22rocsparse_matrix_type_20rocsparse_fill_mode_23rocsparse_storage_mode_P22rocsparse_data_status_,"axG",@progbits,_ZN9rocsparseL23check_matrix_csr_deviceILj256ELj4E21rocsparse_complex_numIdEliEEvT3_S3_T2_PKT1_PKS4_PKS3_SB_21rocsparse_index_base_22rocsparse_matrix_type_20rocsparse_fill_mode_23rocsparse_storage_mode_P22rocsparse_data_status_,comdat
.Lfunc_end53:
	.size	_ZN9rocsparseL23check_matrix_csr_deviceILj256ELj4E21rocsparse_complex_numIdEliEEvT3_S3_T2_PKT1_PKS4_PKS3_SB_21rocsparse_index_base_22rocsparse_matrix_type_20rocsparse_fill_mode_23rocsparse_storage_mode_P22rocsparse_data_status_, .Lfunc_end53-_ZN9rocsparseL23check_matrix_csr_deviceILj256ELj4E21rocsparse_complex_numIdEliEEvT3_S3_T2_PKT1_PKS4_PKS3_SB_21rocsparse_index_base_22rocsparse_matrix_type_20rocsparse_fill_mode_23rocsparse_storage_mode_P22rocsparse_data_status_
                                        ; -- End function
	.set _ZN9rocsparseL23check_matrix_csr_deviceILj256ELj4E21rocsparse_complex_numIdEliEEvT3_S3_T2_PKT1_PKS4_PKS3_SB_21rocsparse_index_base_22rocsparse_matrix_type_20rocsparse_fill_mode_23rocsparse_storage_mode_P22rocsparse_data_status_.num_vgpr, 20
	.set _ZN9rocsparseL23check_matrix_csr_deviceILj256ELj4E21rocsparse_complex_numIdEliEEvT3_S3_T2_PKT1_PKS4_PKS3_SB_21rocsparse_index_base_22rocsparse_matrix_type_20rocsparse_fill_mode_23rocsparse_storage_mode_P22rocsparse_data_status_.num_agpr, 0
	.set _ZN9rocsparseL23check_matrix_csr_deviceILj256ELj4E21rocsparse_complex_numIdEliEEvT3_S3_T2_PKT1_PKS4_PKS3_SB_21rocsparse_index_base_22rocsparse_matrix_type_20rocsparse_fill_mode_23rocsparse_storage_mode_P22rocsparse_data_status_.numbered_sgpr, 23
	.set _ZN9rocsparseL23check_matrix_csr_deviceILj256ELj4E21rocsparse_complex_numIdEliEEvT3_S3_T2_PKT1_PKS4_PKS3_SB_21rocsparse_index_base_22rocsparse_matrix_type_20rocsparse_fill_mode_23rocsparse_storage_mode_P22rocsparse_data_status_.num_named_barrier, 0
	.set _ZN9rocsparseL23check_matrix_csr_deviceILj256ELj4E21rocsparse_complex_numIdEliEEvT3_S3_T2_PKT1_PKS4_PKS3_SB_21rocsparse_index_base_22rocsparse_matrix_type_20rocsparse_fill_mode_23rocsparse_storage_mode_P22rocsparse_data_status_.private_seg_size, 0
	.set _ZN9rocsparseL23check_matrix_csr_deviceILj256ELj4E21rocsparse_complex_numIdEliEEvT3_S3_T2_PKT1_PKS4_PKS3_SB_21rocsparse_index_base_22rocsparse_matrix_type_20rocsparse_fill_mode_23rocsparse_storage_mode_P22rocsparse_data_status_.uses_vcc, 1
	.set _ZN9rocsparseL23check_matrix_csr_deviceILj256ELj4E21rocsparse_complex_numIdEliEEvT3_S3_T2_PKT1_PKS4_PKS3_SB_21rocsparse_index_base_22rocsparse_matrix_type_20rocsparse_fill_mode_23rocsparse_storage_mode_P22rocsparse_data_status_.uses_flat_scratch, 0
	.set _ZN9rocsparseL23check_matrix_csr_deviceILj256ELj4E21rocsparse_complex_numIdEliEEvT3_S3_T2_PKT1_PKS4_PKS3_SB_21rocsparse_index_base_22rocsparse_matrix_type_20rocsparse_fill_mode_23rocsparse_storage_mode_P22rocsparse_data_status_.has_dyn_sized_stack, 0
	.set _ZN9rocsparseL23check_matrix_csr_deviceILj256ELj4E21rocsparse_complex_numIdEliEEvT3_S3_T2_PKT1_PKS4_PKS3_SB_21rocsparse_index_base_22rocsparse_matrix_type_20rocsparse_fill_mode_23rocsparse_storage_mode_P22rocsparse_data_status_.has_recursion, 0
	.set _ZN9rocsparseL23check_matrix_csr_deviceILj256ELj4E21rocsparse_complex_numIdEliEEvT3_S3_T2_PKT1_PKS4_PKS3_SB_21rocsparse_index_base_22rocsparse_matrix_type_20rocsparse_fill_mode_23rocsparse_storage_mode_P22rocsparse_data_status_.has_indirect_call, 0
	.section	.AMDGPU.csdata,"",@progbits
; Kernel info:
; codeLenInByte = 1060
; TotalNumSgprs: 25
; NumVgprs: 20
; ScratchSize: 0
; MemoryBound: 0
; FloatMode: 240
; IeeeMode: 1
; LDSByteSize: 0 bytes/workgroup (compile time only)
; SGPRBlocks: 0
; VGPRBlocks: 1
; NumSGPRsForWavesPerEU: 25
; NumVGPRsForWavesPerEU: 20
; NamedBarCnt: 0
; Occupancy: 16
; WaveLimiterHint : 0
; COMPUTE_PGM_RSRC2:SCRATCH_EN: 0
; COMPUTE_PGM_RSRC2:USER_SGPR: 2
; COMPUTE_PGM_RSRC2:TRAP_HANDLER: 0
; COMPUTE_PGM_RSRC2:TGID_X_EN: 1
; COMPUTE_PGM_RSRC2:TGID_Y_EN: 0
; COMPUTE_PGM_RSRC2:TGID_Z_EN: 0
; COMPUTE_PGM_RSRC2:TIDIG_COMP_CNT: 0
	.section	.text._ZN9rocsparseL23check_matrix_csr_deviceILj256ELj8E21rocsparse_complex_numIdEliEEvT3_S3_T2_PKT1_PKS4_PKS3_SB_21rocsparse_index_base_22rocsparse_matrix_type_20rocsparse_fill_mode_23rocsparse_storage_mode_P22rocsparse_data_status_,"axG",@progbits,_ZN9rocsparseL23check_matrix_csr_deviceILj256ELj8E21rocsparse_complex_numIdEliEEvT3_S3_T2_PKT1_PKS4_PKS3_SB_21rocsparse_index_base_22rocsparse_matrix_type_20rocsparse_fill_mode_23rocsparse_storage_mode_P22rocsparse_data_status_,comdat
	.globl	_ZN9rocsparseL23check_matrix_csr_deviceILj256ELj8E21rocsparse_complex_numIdEliEEvT3_S3_T2_PKT1_PKS4_PKS3_SB_21rocsparse_index_base_22rocsparse_matrix_type_20rocsparse_fill_mode_23rocsparse_storage_mode_P22rocsparse_data_status_ ; -- Begin function _ZN9rocsparseL23check_matrix_csr_deviceILj256ELj8E21rocsparse_complex_numIdEliEEvT3_S3_T2_PKT1_PKS4_PKS3_SB_21rocsparse_index_base_22rocsparse_matrix_type_20rocsparse_fill_mode_23rocsparse_storage_mode_P22rocsparse_data_status_
	.p2align	8
	.type	_ZN9rocsparseL23check_matrix_csr_deviceILj256ELj8E21rocsparse_complex_numIdEliEEvT3_S3_T2_PKT1_PKS4_PKS3_SB_21rocsparse_index_base_22rocsparse_matrix_type_20rocsparse_fill_mode_23rocsparse_storage_mode_P22rocsparse_data_status_,@function
_ZN9rocsparseL23check_matrix_csr_deviceILj256ELj8E21rocsparse_complex_numIdEliEEvT3_S3_T2_PKT1_PKS4_PKS3_SB_21rocsparse_index_base_22rocsparse_matrix_type_20rocsparse_fill_mode_23rocsparse_storage_mode_P22rocsparse_data_status_: ; @_ZN9rocsparseL23check_matrix_csr_deviceILj256ELj8E21rocsparse_complex_numIdEliEEvT3_S3_T2_PKT1_PKS4_PKS3_SB_21rocsparse_index_base_22rocsparse_matrix_type_20rocsparse_fill_mode_23rocsparse_storage_mode_P22rocsparse_data_status_
; %bb.0:
	s_bfe_u32 s2, ttmp6, 0x4000c
	s_load_b64 s[12:13], s[0:1], 0x0
	s_add_co_i32 s2, s2, 1
	s_and_b32 s3, ttmp6, 15
	s_mul_i32 s2, ttmp9, s2
	s_getreg_b32 s4, hwreg(HW_REG_IB_STS2, 6, 4)
	s_add_co_i32 s3, s3, s2
	s_cmp_eq_u32 s4, 0
	s_cselect_b32 s2, ttmp9, s3
	s_delay_alu instid0(SALU_CYCLE_1) | instskip(SKIP_1) | instid1(VALU_DEP_1)
	v_lshl_or_b32 v1, s2, 8, v0
	s_mov_b32 s2, exec_lo
	v_lshrrev_b32_e32 v16, 3, v1
	s_wait_kmcnt 0x0
	s_delay_alu instid0(VALU_DEP_1)
	v_cmpx_gt_i32_e64 s12, v16
	s_cbranch_execz .LBB54_31
; %bb.1:
	s_load_b64 s[2:3], s[0:1], 0x18
	v_dual_lshlrev_b32 v1, 3, v16 :: v_dual_mov_b32 v17, 3
	s_wait_kmcnt 0x0
	global_load_b128 v[8:11], v1, s[2:3]
	s_wait_xcnt 0x0
	s_load_b64 s[2:3], s[2:3], 0x0
	s_wait_loadcnt 0x0
	s_wait_kmcnt 0x0
	v_sub_nc_u64_e64 v[4:5], v[10:11], s[2:3]
	v_sub_nc_u64_e64 v[6:7], v[8:9], s[2:3]
	v_cmp_lt_i64_e64 s2, v[10:11], v[8:9]
	s_delay_alu instid0(VALU_DEP_3) | instskip(NEXT) | instid1(VALU_DEP_3)
	v_cmp_gt_i64_e32 vcc_lo, 0, v[4:5]
	v_cmp_lt_i64_e64 s3, -1, v[6:7]
	s_or_b32 s2, vcc_lo, s2
	s_delay_alu instid0(SALU_CYCLE_1) | instskip(SKIP_2) | instid1(SALU_CYCLE_1)
	s_xor_b32 s4, s2, -1
	s_mov_b32 s2, -1
	s_and_b32 s3, s3, s4
	s_and_saveexec_b32 s12, s3
	s_cbranch_execz .LBB54_29
; %bb.2:
	v_dual_mov_b32 v1, 0 :: v_dual_bitop2_b32 v0, 7, v0 bitop3:0x40
	v_mov_b32_e32 v17, 3
	s_mov_b32 s2, 0
	s_mov_b32 s14, exec_lo
	s_delay_alu instid0(VALU_DEP_2) | instskip(NEXT) | instid1(VALU_DEP_1)
	v_add_nc_u64_e32 v[8:9], v[6:7], v[0:1]
	v_cmpx_lt_u64_e64 v[8:9], v[4:5]
	s_cbranch_execz .LBB54_28
; %bb.3:
	s_clause 0x1
	s_load_b256 s[4:11], s[0:1], 0x20
	s_load_b64 s[2:3], s[0:1], 0x10
	v_lshl_add_u64 v[0:1], v[8:9], 2, -4
	s_wait_kmcnt 0x0
	s_cmp_lg_u32 s9, 0
	v_lshl_add_u64 v[2:3], v[8:9], 4, s[2:3]
	s_delay_alu instid0(VALU_DEP_2)
	v_add_nc_u64_e32 v[10:11], s[6:7], v[0:1]
	v_add_nc_u64_e32 v[12:13], s[4:5], v[0:1]
	s_cselect_b32 s9, -1, 0
	s_cmp_lg_u32 s10, 0
	v_add_nc_u64_e32 v[14:15], 8, v[2:3]
	s_cselect_b32 s4, -1, 0
	s_cmp_lg_u32 s11, 0
	s_mov_b32 s5, 0
	s_cselect_b32 s6, -1, 0
                                        ; implicit-def: $sgpr7
                                        ; implicit-def: $sgpr10
                                        ; implicit-def: $sgpr11
	s_branch .LBB54_10
.LBB54_4:                               ;   in Loop: Header=BB54_10 Depth=1
	s_or_b32 exec_lo, exec_lo, s3
	s_delay_alu instid0(SALU_CYCLE_1)
	s_or_not1_b32 s22, s2, exec_lo
	s_or_not1_b32 s2, s19, exec_lo
.LBB54_5:                               ;   in Loop: Header=BB54_10 Depth=1
	s_or_b32 exec_lo, exec_lo, s20
	s_delay_alu instid0(SALU_CYCLE_1)
	s_or_not1_b32 s3, s22, exec_lo
	s_or_not1_b32 s2, s2, exec_lo
.LBB54_6:                               ;   in Loop: Header=BB54_10 Depth=1
	s_or_b32 exec_lo, exec_lo, s18
	s_delay_alu instid0(SALU_CYCLE_1)
	s_or_not1_b32 s18, s3, exec_lo
	s_or_not1_b32 s3, s2, exec_lo
.LBB54_7:                               ;   in Loop: Header=BB54_10 Depth=1
	s_or_b32 exec_lo, exec_lo, s17
	s_delay_alu instid0(SALU_CYCLE_1)
	s_or_not1_b32 s17, s18, exec_lo
	s_or_not1_b32 s2, s3, exec_lo
.LBB54_8:                               ;   in Loop: Header=BB54_10 Depth=1
	s_or_b32 exec_lo, exec_lo, s16
	s_delay_alu instid0(SALU_CYCLE_1)
	s_and_not1_b32 s3, s11, exec_lo
	s_and_b32 s11, s17, exec_lo
	s_and_not1_b32 s10, s10, exec_lo
	s_and_b32 s2, s2, exec_lo
	s_or_b32 s11, s3, s11
	s_or_b32 s10, s10, s2
.LBB54_9:                               ;   in Loop: Header=BB54_10 Depth=1
	s_or_b32 exec_lo, exec_lo, s15
	s_delay_alu instid0(SALU_CYCLE_1) | instskip(NEXT) | instid1(SALU_CYCLE_1)
	s_and_b32 s2, exec_lo, s10
	s_or_b32 s5, s2, s5
	s_and_not1_b32 s2, s7, exec_lo
	s_and_b32 s3, s11, exec_lo
	s_delay_alu instid0(SALU_CYCLE_1)
	s_or_b32 s7, s2, s3
	s_and_not1_b32 exec_lo, exec_lo, s5
	s_cbranch_execz .LBB54_27
.LBB54_10:                              ; =>This Inner Loop Header: Depth=1
	global_load_b32 v18, v[12:13], off offset:4
	v_mov_b32_e32 v17, 4
	s_or_b32 s11, s11, exec_lo
	s_or_b32 s10, s10, exec_lo
	s_wait_loadcnt 0x0
	v_subrev_nc_u32_e32 v19, s8, v18
	s_delay_alu instid0(VALU_DEP_1) | instskip(SKIP_2) | instid1(SALU_CYCLE_1)
	v_cmp_lt_i32_e32 vcc_lo, -1, v19
	v_cmp_gt_i32_e64 s2, s13, v19
	s_and_b32 s2, vcc_lo, s2
	s_and_saveexec_b32 s15, s2
	s_cbranch_execz .LBB54_9
; %bb.11:                               ;   in Loop: Header=BB54_10 Depth=1
	v_cmp_le_i64_e64 s19, v[8:9], v[6:7]
	v_mov_b32_e32 v17, 4
	s_mov_b32 s16, exec_lo
	s_mov_b32 s3, s19
	v_cmpx_gt_i64_e64 v[8:9], v[6:7]
	s_cbranch_execz .LBB54_13
; %bb.12:                               ;   in Loop: Header=BB54_10 Depth=1
	global_load_b64 v[0:1], v[10:11], off
	v_mov_b32_e32 v17, 5
	s_wait_loadcnt 0x0
	v_subrev_nc_u32_e32 v2, s8, v0
	v_cmp_ne_u32_e64 s3, v1, v0
	s_delay_alu instid0(VALU_DEP_2) | instskip(SKIP_2) | instid1(SALU_CYCLE_1)
	v_cmp_lt_i32_e32 vcc_lo, -1, v2
	v_cmp_gt_i32_e64 s2, s13, v2
	s_and_b32 s2, vcc_lo, s2
	s_xor_b32 s2, s2, -1
	s_delay_alu instid0(SALU_CYCLE_1) | instskip(SKIP_2) | instid1(SALU_CYCLE_1)
	s_or_b32 s2, s3, s2
	s_and_not1_b32 s3, s19, exec_lo
	s_and_b32 s2, s2, exec_lo
	s_or_b32 s3, s3, s2
.LBB54_13:                              ;   in Loop: Header=BB54_10 Depth=1
	s_or_b32 exec_lo, exec_lo, s16
	s_mov_b32 s2, -1
	s_mov_b32 s17, -1
	s_and_saveexec_b32 s16, s3
	s_cbranch_execz .LBB54_8
; %bb.14:                               ;   in Loop: Header=BB54_10 Depth=1
	global_load_b128 v[0:3], v[14:15], off offset:-8
	v_mov_b32_e32 v17, 1
	s_mov_b32 s3, -1
	s_mov_b32 s18, -1
	s_wait_loadcnt 0x0
	v_cmp_neq_f64_e32 vcc_lo, 0x7ff00000, v[0:1]
	v_cmp_neq_f64_e64 s2, 0x7ff00000, v[2:3]
	s_and_b32 s2, vcc_lo, s2
	s_delay_alu instid0(SALU_CYCLE_1)
	s_and_saveexec_b32 s17, s2
	s_cbranch_execz .LBB54_7
; %bb.15:                               ;   in Loop: Header=BB54_10 Depth=1
	v_mov_b32_e32 v17, 2
	s_mov_b32 s2, -1
	s_mov_b32 s18, exec_lo
	v_cmpx_o_f64_e32 v[0:1], v[2:3]
	s_cbranch_execz .LBB54_6
; %bb.16:                               ;   in Loop: Header=BB54_10 Depth=1
	s_and_b32 vcc_lo, exec_lo, s9
	s_cbranch_vccz .LBB54_19
; %bb.17:                               ;   in Loop: Header=BB54_10 Depth=1
	s_and_b32 vcc_lo, exec_lo, s4
	s_cbranch_vccz .LBB54_20
; %bb.18:                               ;   in Loop: Header=BB54_10 Depth=1
	v_cmp_le_i32_e32 vcc_lo, v16, v19
	s_mov_b32 s3, 7
	s_and_b32 s21, vcc_lo, exec_lo
	s_cbranch_execz .LBB54_21
	s_branch .LBB54_22
.LBB54_19:                              ;   in Loop: Header=BB54_10 Depth=1
	s_mov_b32 s3, 2
	s_mov_b32 s21, -1
	s_branch .LBB54_22
.LBB54_20:                              ;   in Loop: Header=BB54_10 Depth=1
	s_mov_b32 s21, 0
	s_mov_b32 s3, 2
.LBB54_21:                              ;   in Loop: Header=BB54_10 Depth=1
	v_cmp_ge_i32_e32 vcc_lo, v16, v19
	s_and_not1_b32 s20, s21, exec_lo
	s_mov_b32 s3, 7
	s_and_b32 s21, vcc_lo, exec_lo
	s_delay_alu instid0(SALU_CYCLE_1)
	s_or_b32 s21, s20, s21
.LBB54_22:                              ;   in Loop: Header=BB54_10 Depth=1
	v_mov_b32_e32 v17, s3
	s_mov_b32 s22, -1
	s_and_saveexec_b32 s20, s21
	s_cbranch_execz .LBB54_5
; %bb.23:                               ;   in Loop: Header=BB54_10 Depth=1
	v_mov_b32_e32 v17, s3
	s_nor_b32 s2, s6, s19
	s_mov_b32 s19, -1
	s_and_saveexec_b32 s21, s2
	s_cbranch_execz .LBB54_25
; %bb.24:                               ;   in Loop: Header=BB54_10 Depth=1
	global_load_b32 v0, v[12:13], off
	v_mov_b32_e32 v17, 6
	s_wait_loadcnt 0x0
	v_subrev_nc_u32_e32 v1, s8, v0
	v_cmp_gt_i32_e64 s3, v18, v0
	s_delay_alu instid0(VALU_DEP_2) | instskip(SKIP_2) | instid1(SALU_CYCLE_1)
	v_cmp_lt_i32_e32 vcc_lo, -1, v1
	v_cmp_gt_i32_e64 s2, s13, v1
	s_and_b32 s2, vcc_lo, s2
	s_xor_b32 s2, s2, -1
	s_delay_alu instid0(SALU_CYCLE_1) | instskip(NEXT) | instid1(SALU_CYCLE_1)
	s_or_b32 s2, s3, s2
	s_or_not1_b32 s22, s2, exec_lo
.LBB54_25:                              ;   in Loop: Header=BB54_10 Depth=1
	s_or_b32 exec_lo, exec_lo, s21
	s_mov_b32 s2, -1
	s_and_saveexec_b32 s3, s22
	s_cbranch_execz .LBB54_4
; %bb.26:                               ;   in Loop: Header=BB54_10 Depth=1
	v_add_nc_u64_e32 v[8:9], 8, v[8:9]
	v_add_nc_u64_e32 v[10:11], 32, v[10:11]
	;; [unrolled: 1-line block ×4, first 2 shown]
	s_xor_b32 s2, exec_lo, -1
	s_delay_alu instid0(VALU_DEP_4)
	v_cmp_ge_i64_e32 vcc_lo, v[8:9], v[4:5]
	s_or_not1_b32 s19, vcc_lo, exec_lo
	s_branch .LBB54_4
.LBB54_27:
	s_or_b32 exec_lo, exec_lo, s5
	s_delay_alu instid0(SALU_CYCLE_1)
	s_and_b32 s2, s7, exec_lo
.LBB54_28:
	s_or_b32 exec_lo, exec_lo, s14
	s_delay_alu instid0(SALU_CYCLE_1)
	s_or_not1_b32 s2, s2, exec_lo
.LBB54_29:
	s_or_b32 exec_lo, exec_lo, s12
	s_delay_alu instid0(SALU_CYCLE_1)
	s_and_b32 exec_lo, exec_lo, s2
	s_cbranch_execz .LBB54_31
; %bb.30:
	s_load_b64 s[0:1], s[0:1], 0x40
	v_mov_b32_e32 v0, 0
	s_wait_kmcnt 0x0
	global_store_b32 v0, v17, s[0:1]
.LBB54_31:
	s_endpgm
	.section	.rodata,"a",@progbits
	.p2align	6, 0x0
	.amdhsa_kernel _ZN9rocsparseL23check_matrix_csr_deviceILj256ELj8E21rocsparse_complex_numIdEliEEvT3_S3_T2_PKT1_PKS4_PKS3_SB_21rocsparse_index_base_22rocsparse_matrix_type_20rocsparse_fill_mode_23rocsparse_storage_mode_P22rocsparse_data_status_
		.amdhsa_group_segment_fixed_size 0
		.amdhsa_private_segment_fixed_size 0
		.amdhsa_kernarg_size 72
		.amdhsa_user_sgpr_count 2
		.amdhsa_user_sgpr_dispatch_ptr 0
		.amdhsa_user_sgpr_queue_ptr 0
		.amdhsa_user_sgpr_kernarg_segment_ptr 1
		.amdhsa_user_sgpr_dispatch_id 0
		.amdhsa_user_sgpr_kernarg_preload_length 0
		.amdhsa_user_sgpr_kernarg_preload_offset 0
		.amdhsa_user_sgpr_private_segment_size 0
		.amdhsa_wavefront_size32 1
		.amdhsa_uses_dynamic_stack 0
		.amdhsa_enable_private_segment 0
		.amdhsa_system_sgpr_workgroup_id_x 1
		.amdhsa_system_sgpr_workgroup_id_y 0
		.amdhsa_system_sgpr_workgroup_id_z 0
		.amdhsa_system_sgpr_workgroup_info 0
		.amdhsa_system_vgpr_workitem_id 0
		.amdhsa_next_free_vgpr 20
		.amdhsa_next_free_sgpr 23
		.amdhsa_named_barrier_count 0
		.amdhsa_reserve_vcc 1
		.amdhsa_float_round_mode_32 0
		.amdhsa_float_round_mode_16_64 0
		.amdhsa_float_denorm_mode_32 3
		.amdhsa_float_denorm_mode_16_64 3
		.amdhsa_fp16_overflow 0
		.amdhsa_memory_ordered 1
		.amdhsa_forward_progress 1
		.amdhsa_inst_pref_size 9
		.amdhsa_round_robin_scheduling 0
		.amdhsa_exception_fp_ieee_invalid_op 0
		.amdhsa_exception_fp_denorm_src 0
		.amdhsa_exception_fp_ieee_div_zero 0
		.amdhsa_exception_fp_ieee_overflow 0
		.amdhsa_exception_fp_ieee_underflow 0
		.amdhsa_exception_fp_ieee_inexact 0
		.amdhsa_exception_int_div_zero 0
	.end_amdhsa_kernel
	.section	.text._ZN9rocsparseL23check_matrix_csr_deviceILj256ELj8E21rocsparse_complex_numIdEliEEvT3_S3_T2_PKT1_PKS4_PKS3_SB_21rocsparse_index_base_22rocsparse_matrix_type_20rocsparse_fill_mode_23rocsparse_storage_mode_P22rocsparse_data_status_,"axG",@progbits,_ZN9rocsparseL23check_matrix_csr_deviceILj256ELj8E21rocsparse_complex_numIdEliEEvT3_S3_T2_PKT1_PKS4_PKS3_SB_21rocsparse_index_base_22rocsparse_matrix_type_20rocsparse_fill_mode_23rocsparse_storage_mode_P22rocsparse_data_status_,comdat
.Lfunc_end54:
	.size	_ZN9rocsparseL23check_matrix_csr_deviceILj256ELj8E21rocsparse_complex_numIdEliEEvT3_S3_T2_PKT1_PKS4_PKS3_SB_21rocsparse_index_base_22rocsparse_matrix_type_20rocsparse_fill_mode_23rocsparse_storage_mode_P22rocsparse_data_status_, .Lfunc_end54-_ZN9rocsparseL23check_matrix_csr_deviceILj256ELj8E21rocsparse_complex_numIdEliEEvT3_S3_T2_PKT1_PKS4_PKS3_SB_21rocsparse_index_base_22rocsparse_matrix_type_20rocsparse_fill_mode_23rocsparse_storage_mode_P22rocsparse_data_status_
                                        ; -- End function
	.set _ZN9rocsparseL23check_matrix_csr_deviceILj256ELj8E21rocsparse_complex_numIdEliEEvT3_S3_T2_PKT1_PKS4_PKS3_SB_21rocsparse_index_base_22rocsparse_matrix_type_20rocsparse_fill_mode_23rocsparse_storage_mode_P22rocsparse_data_status_.num_vgpr, 20
	.set _ZN9rocsparseL23check_matrix_csr_deviceILj256ELj8E21rocsparse_complex_numIdEliEEvT3_S3_T2_PKT1_PKS4_PKS3_SB_21rocsparse_index_base_22rocsparse_matrix_type_20rocsparse_fill_mode_23rocsparse_storage_mode_P22rocsparse_data_status_.num_agpr, 0
	.set _ZN9rocsparseL23check_matrix_csr_deviceILj256ELj8E21rocsparse_complex_numIdEliEEvT3_S3_T2_PKT1_PKS4_PKS3_SB_21rocsparse_index_base_22rocsparse_matrix_type_20rocsparse_fill_mode_23rocsparse_storage_mode_P22rocsparse_data_status_.numbered_sgpr, 23
	.set _ZN9rocsparseL23check_matrix_csr_deviceILj256ELj8E21rocsparse_complex_numIdEliEEvT3_S3_T2_PKT1_PKS4_PKS3_SB_21rocsparse_index_base_22rocsparse_matrix_type_20rocsparse_fill_mode_23rocsparse_storage_mode_P22rocsparse_data_status_.num_named_barrier, 0
	.set _ZN9rocsparseL23check_matrix_csr_deviceILj256ELj8E21rocsparse_complex_numIdEliEEvT3_S3_T2_PKT1_PKS4_PKS3_SB_21rocsparse_index_base_22rocsparse_matrix_type_20rocsparse_fill_mode_23rocsparse_storage_mode_P22rocsparse_data_status_.private_seg_size, 0
	.set _ZN9rocsparseL23check_matrix_csr_deviceILj256ELj8E21rocsparse_complex_numIdEliEEvT3_S3_T2_PKT1_PKS4_PKS3_SB_21rocsparse_index_base_22rocsparse_matrix_type_20rocsparse_fill_mode_23rocsparse_storage_mode_P22rocsparse_data_status_.uses_vcc, 1
	.set _ZN9rocsparseL23check_matrix_csr_deviceILj256ELj8E21rocsparse_complex_numIdEliEEvT3_S3_T2_PKT1_PKS4_PKS3_SB_21rocsparse_index_base_22rocsparse_matrix_type_20rocsparse_fill_mode_23rocsparse_storage_mode_P22rocsparse_data_status_.uses_flat_scratch, 0
	.set _ZN9rocsparseL23check_matrix_csr_deviceILj256ELj8E21rocsparse_complex_numIdEliEEvT3_S3_T2_PKT1_PKS4_PKS3_SB_21rocsparse_index_base_22rocsparse_matrix_type_20rocsparse_fill_mode_23rocsparse_storage_mode_P22rocsparse_data_status_.has_dyn_sized_stack, 0
	.set _ZN9rocsparseL23check_matrix_csr_deviceILj256ELj8E21rocsparse_complex_numIdEliEEvT3_S3_T2_PKT1_PKS4_PKS3_SB_21rocsparse_index_base_22rocsparse_matrix_type_20rocsparse_fill_mode_23rocsparse_storage_mode_P22rocsparse_data_status_.has_recursion, 0
	.set _ZN9rocsparseL23check_matrix_csr_deviceILj256ELj8E21rocsparse_complex_numIdEliEEvT3_S3_T2_PKT1_PKS4_PKS3_SB_21rocsparse_index_base_22rocsparse_matrix_type_20rocsparse_fill_mode_23rocsparse_storage_mode_P22rocsparse_data_status_.has_indirect_call, 0
	.section	.AMDGPU.csdata,"",@progbits
; Kernel info:
; codeLenInByte = 1060
; TotalNumSgprs: 25
; NumVgprs: 20
; ScratchSize: 0
; MemoryBound: 0
; FloatMode: 240
; IeeeMode: 1
; LDSByteSize: 0 bytes/workgroup (compile time only)
; SGPRBlocks: 0
; VGPRBlocks: 1
; NumSGPRsForWavesPerEU: 25
; NumVGPRsForWavesPerEU: 20
; NamedBarCnt: 0
; Occupancy: 16
; WaveLimiterHint : 0
; COMPUTE_PGM_RSRC2:SCRATCH_EN: 0
; COMPUTE_PGM_RSRC2:USER_SGPR: 2
; COMPUTE_PGM_RSRC2:TRAP_HANDLER: 0
; COMPUTE_PGM_RSRC2:TGID_X_EN: 1
; COMPUTE_PGM_RSRC2:TGID_Y_EN: 0
; COMPUTE_PGM_RSRC2:TGID_Z_EN: 0
; COMPUTE_PGM_RSRC2:TIDIG_COMP_CNT: 0
	.section	.text._ZN9rocsparseL23check_matrix_csr_deviceILj256ELj16E21rocsparse_complex_numIdEliEEvT3_S3_T2_PKT1_PKS4_PKS3_SB_21rocsparse_index_base_22rocsparse_matrix_type_20rocsparse_fill_mode_23rocsparse_storage_mode_P22rocsparse_data_status_,"axG",@progbits,_ZN9rocsparseL23check_matrix_csr_deviceILj256ELj16E21rocsparse_complex_numIdEliEEvT3_S3_T2_PKT1_PKS4_PKS3_SB_21rocsparse_index_base_22rocsparse_matrix_type_20rocsparse_fill_mode_23rocsparse_storage_mode_P22rocsparse_data_status_,comdat
	.globl	_ZN9rocsparseL23check_matrix_csr_deviceILj256ELj16E21rocsparse_complex_numIdEliEEvT3_S3_T2_PKT1_PKS4_PKS3_SB_21rocsparse_index_base_22rocsparse_matrix_type_20rocsparse_fill_mode_23rocsparse_storage_mode_P22rocsparse_data_status_ ; -- Begin function _ZN9rocsparseL23check_matrix_csr_deviceILj256ELj16E21rocsparse_complex_numIdEliEEvT3_S3_T2_PKT1_PKS4_PKS3_SB_21rocsparse_index_base_22rocsparse_matrix_type_20rocsparse_fill_mode_23rocsparse_storage_mode_P22rocsparse_data_status_
	.p2align	8
	.type	_ZN9rocsparseL23check_matrix_csr_deviceILj256ELj16E21rocsparse_complex_numIdEliEEvT3_S3_T2_PKT1_PKS4_PKS3_SB_21rocsparse_index_base_22rocsparse_matrix_type_20rocsparse_fill_mode_23rocsparse_storage_mode_P22rocsparse_data_status_,@function
_ZN9rocsparseL23check_matrix_csr_deviceILj256ELj16E21rocsparse_complex_numIdEliEEvT3_S3_T2_PKT1_PKS4_PKS3_SB_21rocsparse_index_base_22rocsparse_matrix_type_20rocsparse_fill_mode_23rocsparse_storage_mode_P22rocsparse_data_status_: ; @_ZN9rocsparseL23check_matrix_csr_deviceILj256ELj16E21rocsparse_complex_numIdEliEEvT3_S3_T2_PKT1_PKS4_PKS3_SB_21rocsparse_index_base_22rocsparse_matrix_type_20rocsparse_fill_mode_23rocsparse_storage_mode_P22rocsparse_data_status_
; %bb.0:
	s_bfe_u32 s2, ttmp6, 0x4000c
	s_load_b64 s[12:13], s[0:1], 0x0
	s_add_co_i32 s2, s2, 1
	s_and_b32 s3, ttmp6, 15
	s_mul_i32 s2, ttmp9, s2
	s_getreg_b32 s4, hwreg(HW_REG_IB_STS2, 6, 4)
	s_add_co_i32 s3, s3, s2
	s_cmp_eq_u32 s4, 0
	s_cselect_b32 s2, ttmp9, s3
	s_delay_alu instid0(SALU_CYCLE_1) | instskip(SKIP_1) | instid1(VALU_DEP_1)
	v_lshl_or_b32 v1, s2, 8, v0
	s_mov_b32 s2, exec_lo
	v_lshrrev_b32_e32 v16, 4, v1
	s_wait_kmcnt 0x0
	s_delay_alu instid0(VALU_DEP_1)
	v_cmpx_gt_i32_e64 s12, v16
	s_cbranch_execz .LBB55_31
; %bb.1:
	s_load_b64 s[2:3], s[0:1], 0x18
	v_dual_lshlrev_b32 v1, 3, v16 :: v_dual_mov_b32 v17, 3
	s_wait_kmcnt 0x0
	global_load_b128 v[8:11], v1, s[2:3]
	s_wait_xcnt 0x0
	s_load_b64 s[2:3], s[2:3], 0x0
	s_wait_loadcnt 0x0
	s_wait_kmcnt 0x0
	v_sub_nc_u64_e64 v[4:5], v[10:11], s[2:3]
	v_sub_nc_u64_e64 v[6:7], v[8:9], s[2:3]
	v_cmp_lt_i64_e64 s2, v[10:11], v[8:9]
	s_delay_alu instid0(VALU_DEP_3) | instskip(NEXT) | instid1(VALU_DEP_3)
	v_cmp_gt_i64_e32 vcc_lo, 0, v[4:5]
	v_cmp_lt_i64_e64 s3, -1, v[6:7]
	s_or_b32 s2, vcc_lo, s2
	s_delay_alu instid0(SALU_CYCLE_1) | instskip(SKIP_2) | instid1(SALU_CYCLE_1)
	s_xor_b32 s4, s2, -1
	s_mov_b32 s2, -1
	s_and_b32 s3, s3, s4
	s_and_saveexec_b32 s12, s3
	s_cbranch_execz .LBB55_29
; %bb.2:
	v_dual_mov_b32 v1, 0 :: v_dual_bitop2_b32 v0, 15, v0 bitop3:0x40
	v_mov_b32_e32 v17, 3
	s_mov_b32 s2, 0
	s_mov_b32 s14, exec_lo
	s_delay_alu instid0(VALU_DEP_2) | instskip(NEXT) | instid1(VALU_DEP_1)
	v_add_nc_u64_e32 v[8:9], v[6:7], v[0:1]
	v_cmpx_lt_u64_e64 v[8:9], v[4:5]
	s_cbranch_execz .LBB55_28
; %bb.3:
	s_clause 0x1
	s_load_b256 s[4:11], s[0:1], 0x20
	s_load_b64 s[2:3], s[0:1], 0x10
	v_lshl_add_u64 v[0:1], v[8:9], 2, -4
	s_wait_kmcnt 0x0
	s_cmp_lg_u32 s9, 0
	v_lshl_add_u64 v[2:3], v[8:9], 4, s[2:3]
	s_delay_alu instid0(VALU_DEP_2)
	v_add_nc_u64_e32 v[10:11], s[6:7], v[0:1]
	v_add_nc_u64_e32 v[12:13], s[4:5], v[0:1]
	s_cselect_b32 s9, -1, 0
	s_cmp_lg_u32 s10, 0
	v_add_nc_u64_e32 v[14:15], 8, v[2:3]
	s_cselect_b32 s4, -1, 0
	s_cmp_lg_u32 s11, 0
	s_mov_b32 s5, 0
	s_cselect_b32 s6, -1, 0
                                        ; implicit-def: $sgpr7
                                        ; implicit-def: $sgpr10
                                        ; implicit-def: $sgpr11
	s_branch .LBB55_10
.LBB55_4:                               ;   in Loop: Header=BB55_10 Depth=1
	s_or_b32 exec_lo, exec_lo, s3
	s_delay_alu instid0(SALU_CYCLE_1)
	s_or_not1_b32 s22, s2, exec_lo
	s_or_not1_b32 s2, s19, exec_lo
.LBB55_5:                               ;   in Loop: Header=BB55_10 Depth=1
	s_or_b32 exec_lo, exec_lo, s20
	s_delay_alu instid0(SALU_CYCLE_1)
	s_or_not1_b32 s3, s22, exec_lo
	s_or_not1_b32 s2, s2, exec_lo
.LBB55_6:                               ;   in Loop: Header=BB55_10 Depth=1
	s_or_b32 exec_lo, exec_lo, s18
	s_delay_alu instid0(SALU_CYCLE_1)
	s_or_not1_b32 s18, s3, exec_lo
	s_or_not1_b32 s3, s2, exec_lo
.LBB55_7:                               ;   in Loop: Header=BB55_10 Depth=1
	s_or_b32 exec_lo, exec_lo, s17
	s_delay_alu instid0(SALU_CYCLE_1)
	s_or_not1_b32 s17, s18, exec_lo
	s_or_not1_b32 s2, s3, exec_lo
.LBB55_8:                               ;   in Loop: Header=BB55_10 Depth=1
	s_or_b32 exec_lo, exec_lo, s16
	s_delay_alu instid0(SALU_CYCLE_1)
	s_and_not1_b32 s3, s11, exec_lo
	s_and_b32 s11, s17, exec_lo
	s_and_not1_b32 s10, s10, exec_lo
	s_and_b32 s2, s2, exec_lo
	s_or_b32 s11, s3, s11
	s_or_b32 s10, s10, s2
.LBB55_9:                               ;   in Loop: Header=BB55_10 Depth=1
	s_or_b32 exec_lo, exec_lo, s15
	s_delay_alu instid0(SALU_CYCLE_1) | instskip(NEXT) | instid1(SALU_CYCLE_1)
	s_and_b32 s2, exec_lo, s10
	s_or_b32 s5, s2, s5
	s_and_not1_b32 s2, s7, exec_lo
	s_and_b32 s3, s11, exec_lo
	s_delay_alu instid0(SALU_CYCLE_1)
	s_or_b32 s7, s2, s3
	s_and_not1_b32 exec_lo, exec_lo, s5
	s_cbranch_execz .LBB55_27
.LBB55_10:                              ; =>This Inner Loop Header: Depth=1
	global_load_b32 v18, v[12:13], off offset:4
	v_mov_b32_e32 v17, 4
	s_or_b32 s11, s11, exec_lo
	s_or_b32 s10, s10, exec_lo
	s_wait_loadcnt 0x0
	v_subrev_nc_u32_e32 v19, s8, v18
	s_delay_alu instid0(VALU_DEP_1) | instskip(SKIP_2) | instid1(SALU_CYCLE_1)
	v_cmp_lt_i32_e32 vcc_lo, -1, v19
	v_cmp_gt_i32_e64 s2, s13, v19
	s_and_b32 s2, vcc_lo, s2
	s_and_saveexec_b32 s15, s2
	s_cbranch_execz .LBB55_9
; %bb.11:                               ;   in Loop: Header=BB55_10 Depth=1
	v_cmp_le_i64_e64 s19, v[8:9], v[6:7]
	v_mov_b32_e32 v17, 4
	s_mov_b32 s16, exec_lo
	s_mov_b32 s3, s19
	v_cmpx_gt_i64_e64 v[8:9], v[6:7]
	s_cbranch_execz .LBB55_13
; %bb.12:                               ;   in Loop: Header=BB55_10 Depth=1
	global_load_b64 v[0:1], v[10:11], off
	v_mov_b32_e32 v17, 5
	s_wait_loadcnt 0x0
	v_subrev_nc_u32_e32 v2, s8, v0
	v_cmp_ne_u32_e64 s3, v1, v0
	s_delay_alu instid0(VALU_DEP_2) | instskip(SKIP_2) | instid1(SALU_CYCLE_1)
	v_cmp_lt_i32_e32 vcc_lo, -1, v2
	v_cmp_gt_i32_e64 s2, s13, v2
	s_and_b32 s2, vcc_lo, s2
	s_xor_b32 s2, s2, -1
	s_delay_alu instid0(SALU_CYCLE_1) | instskip(SKIP_2) | instid1(SALU_CYCLE_1)
	s_or_b32 s2, s3, s2
	s_and_not1_b32 s3, s19, exec_lo
	s_and_b32 s2, s2, exec_lo
	s_or_b32 s3, s3, s2
.LBB55_13:                              ;   in Loop: Header=BB55_10 Depth=1
	s_or_b32 exec_lo, exec_lo, s16
	s_mov_b32 s2, -1
	s_mov_b32 s17, -1
	s_and_saveexec_b32 s16, s3
	s_cbranch_execz .LBB55_8
; %bb.14:                               ;   in Loop: Header=BB55_10 Depth=1
	global_load_b128 v[0:3], v[14:15], off offset:-8
	v_mov_b32_e32 v17, 1
	s_mov_b32 s3, -1
	s_mov_b32 s18, -1
	s_wait_loadcnt 0x0
	v_cmp_neq_f64_e32 vcc_lo, 0x7ff00000, v[0:1]
	v_cmp_neq_f64_e64 s2, 0x7ff00000, v[2:3]
	s_and_b32 s2, vcc_lo, s2
	s_delay_alu instid0(SALU_CYCLE_1)
	s_and_saveexec_b32 s17, s2
	s_cbranch_execz .LBB55_7
; %bb.15:                               ;   in Loop: Header=BB55_10 Depth=1
	v_mov_b32_e32 v17, 2
	s_mov_b32 s2, -1
	s_mov_b32 s18, exec_lo
	v_cmpx_o_f64_e32 v[0:1], v[2:3]
	s_cbranch_execz .LBB55_6
; %bb.16:                               ;   in Loop: Header=BB55_10 Depth=1
	s_and_b32 vcc_lo, exec_lo, s9
	s_cbranch_vccz .LBB55_19
; %bb.17:                               ;   in Loop: Header=BB55_10 Depth=1
	s_and_b32 vcc_lo, exec_lo, s4
	s_cbranch_vccz .LBB55_20
; %bb.18:                               ;   in Loop: Header=BB55_10 Depth=1
	v_cmp_le_i32_e32 vcc_lo, v16, v19
	s_mov_b32 s3, 7
	s_and_b32 s21, vcc_lo, exec_lo
	s_cbranch_execz .LBB55_21
	s_branch .LBB55_22
.LBB55_19:                              ;   in Loop: Header=BB55_10 Depth=1
	s_mov_b32 s3, 2
	s_mov_b32 s21, -1
	s_branch .LBB55_22
.LBB55_20:                              ;   in Loop: Header=BB55_10 Depth=1
	s_mov_b32 s21, 0
	s_mov_b32 s3, 2
.LBB55_21:                              ;   in Loop: Header=BB55_10 Depth=1
	v_cmp_ge_i32_e32 vcc_lo, v16, v19
	s_and_not1_b32 s20, s21, exec_lo
	s_mov_b32 s3, 7
	s_and_b32 s21, vcc_lo, exec_lo
	s_delay_alu instid0(SALU_CYCLE_1)
	s_or_b32 s21, s20, s21
.LBB55_22:                              ;   in Loop: Header=BB55_10 Depth=1
	v_mov_b32_e32 v17, s3
	s_mov_b32 s22, -1
	s_and_saveexec_b32 s20, s21
	s_cbranch_execz .LBB55_5
; %bb.23:                               ;   in Loop: Header=BB55_10 Depth=1
	v_mov_b32_e32 v17, s3
	s_nor_b32 s2, s6, s19
	s_mov_b32 s19, -1
	s_and_saveexec_b32 s21, s2
	s_cbranch_execz .LBB55_25
; %bb.24:                               ;   in Loop: Header=BB55_10 Depth=1
	global_load_b32 v0, v[12:13], off
	v_mov_b32_e32 v17, 6
	s_wait_loadcnt 0x0
	v_subrev_nc_u32_e32 v1, s8, v0
	v_cmp_gt_i32_e64 s3, v18, v0
	s_delay_alu instid0(VALU_DEP_2) | instskip(SKIP_2) | instid1(SALU_CYCLE_1)
	v_cmp_lt_i32_e32 vcc_lo, -1, v1
	v_cmp_gt_i32_e64 s2, s13, v1
	s_and_b32 s2, vcc_lo, s2
	s_xor_b32 s2, s2, -1
	s_delay_alu instid0(SALU_CYCLE_1) | instskip(NEXT) | instid1(SALU_CYCLE_1)
	s_or_b32 s2, s3, s2
	s_or_not1_b32 s22, s2, exec_lo
.LBB55_25:                              ;   in Loop: Header=BB55_10 Depth=1
	s_or_b32 exec_lo, exec_lo, s21
	s_mov_b32 s2, -1
	s_and_saveexec_b32 s3, s22
	s_cbranch_execz .LBB55_4
; %bb.26:                               ;   in Loop: Header=BB55_10 Depth=1
	v_add_nc_u64_e32 v[8:9], 16, v[8:9]
	v_add_nc_u64_e32 v[10:11], 64, v[10:11]
	;; [unrolled: 1-line block ×4, first 2 shown]
	s_xor_b32 s2, exec_lo, -1
	s_delay_alu instid0(VALU_DEP_4)
	v_cmp_ge_i64_e32 vcc_lo, v[8:9], v[4:5]
	s_or_not1_b32 s19, vcc_lo, exec_lo
	s_branch .LBB55_4
.LBB55_27:
	s_or_b32 exec_lo, exec_lo, s5
	s_delay_alu instid0(SALU_CYCLE_1)
	s_and_b32 s2, s7, exec_lo
.LBB55_28:
	s_or_b32 exec_lo, exec_lo, s14
	s_delay_alu instid0(SALU_CYCLE_1)
	s_or_not1_b32 s2, s2, exec_lo
.LBB55_29:
	s_or_b32 exec_lo, exec_lo, s12
	s_delay_alu instid0(SALU_CYCLE_1)
	s_and_b32 exec_lo, exec_lo, s2
	s_cbranch_execz .LBB55_31
; %bb.30:
	s_load_b64 s[0:1], s[0:1], 0x40
	v_mov_b32_e32 v0, 0
	s_wait_kmcnt 0x0
	global_store_b32 v0, v17, s[0:1]
.LBB55_31:
	s_endpgm
	.section	.rodata,"a",@progbits
	.p2align	6, 0x0
	.amdhsa_kernel _ZN9rocsparseL23check_matrix_csr_deviceILj256ELj16E21rocsparse_complex_numIdEliEEvT3_S3_T2_PKT1_PKS4_PKS3_SB_21rocsparse_index_base_22rocsparse_matrix_type_20rocsparse_fill_mode_23rocsparse_storage_mode_P22rocsparse_data_status_
		.amdhsa_group_segment_fixed_size 0
		.amdhsa_private_segment_fixed_size 0
		.amdhsa_kernarg_size 72
		.amdhsa_user_sgpr_count 2
		.amdhsa_user_sgpr_dispatch_ptr 0
		.amdhsa_user_sgpr_queue_ptr 0
		.amdhsa_user_sgpr_kernarg_segment_ptr 1
		.amdhsa_user_sgpr_dispatch_id 0
		.amdhsa_user_sgpr_kernarg_preload_length 0
		.amdhsa_user_sgpr_kernarg_preload_offset 0
		.amdhsa_user_sgpr_private_segment_size 0
		.amdhsa_wavefront_size32 1
		.amdhsa_uses_dynamic_stack 0
		.amdhsa_enable_private_segment 0
		.amdhsa_system_sgpr_workgroup_id_x 1
		.amdhsa_system_sgpr_workgroup_id_y 0
		.amdhsa_system_sgpr_workgroup_id_z 0
		.amdhsa_system_sgpr_workgroup_info 0
		.amdhsa_system_vgpr_workitem_id 0
		.amdhsa_next_free_vgpr 20
		.amdhsa_next_free_sgpr 23
		.amdhsa_named_barrier_count 0
		.amdhsa_reserve_vcc 1
		.amdhsa_float_round_mode_32 0
		.amdhsa_float_round_mode_16_64 0
		.amdhsa_float_denorm_mode_32 3
		.amdhsa_float_denorm_mode_16_64 3
		.amdhsa_fp16_overflow 0
		.amdhsa_memory_ordered 1
		.amdhsa_forward_progress 1
		.amdhsa_inst_pref_size 9
		.amdhsa_round_robin_scheduling 0
		.amdhsa_exception_fp_ieee_invalid_op 0
		.amdhsa_exception_fp_denorm_src 0
		.amdhsa_exception_fp_ieee_div_zero 0
		.amdhsa_exception_fp_ieee_overflow 0
		.amdhsa_exception_fp_ieee_underflow 0
		.amdhsa_exception_fp_ieee_inexact 0
		.amdhsa_exception_int_div_zero 0
	.end_amdhsa_kernel
	.section	.text._ZN9rocsparseL23check_matrix_csr_deviceILj256ELj16E21rocsparse_complex_numIdEliEEvT3_S3_T2_PKT1_PKS4_PKS3_SB_21rocsparse_index_base_22rocsparse_matrix_type_20rocsparse_fill_mode_23rocsparse_storage_mode_P22rocsparse_data_status_,"axG",@progbits,_ZN9rocsparseL23check_matrix_csr_deviceILj256ELj16E21rocsparse_complex_numIdEliEEvT3_S3_T2_PKT1_PKS4_PKS3_SB_21rocsparse_index_base_22rocsparse_matrix_type_20rocsparse_fill_mode_23rocsparse_storage_mode_P22rocsparse_data_status_,comdat
.Lfunc_end55:
	.size	_ZN9rocsparseL23check_matrix_csr_deviceILj256ELj16E21rocsparse_complex_numIdEliEEvT3_S3_T2_PKT1_PKS4_PKS3_SB_21rocsparse_index_base_22rocsparse_matrix_type_20rocsparse_fill_mode_23rocsparse_storage_mode_P22rocsparse_data_status_, .Lfunc_end55-_ZN9rocsparseL23check_matrix_csr_deviceILj256ELj16E21rocsparse_complex_numIdEliEEvT3_S3_T2_PKT1_PKS4_PKS3_SB_21rocsparse_index_base_22rocsparse_matrix_type_20rocsparse_fill_mode_23rocsparse_storage_mode_P22rocsparse_data_status_
                                        ; -- End function
	.set _ZN9rocsparseL23check_matrix_csr_deviceILj256ELj16E21rocsparse_complex_numIdEliEEvT3_S3_T2_PKT1_PKS4_PKS3_SB_21rocsparse_index_base_22rocsparse_matrix_type_20rocsparse_fill_mode_23rocsparse_storage_mode_P22rocsparse_data_status_.num_vgpr, 20
	.set _ZN9rocsparseL23check_matrix_csr_deviceILj256ELj16E21rocsparse_complex_numIdEliEEvT3_S3_T2_PKT1_PKS4_PKS3_SB_21rocsparse_index_base_22rocsparse_matrix_type_20rocsparse_fill_mode_23rocsparse_storage_mode_P22rocsparse_data_status_.num_agpr, 0
	.set _ZN9rocsparseL23check_matrix_csr_deviceILj256ELj16E21rocsparse_complex_numIdEliEEvT3_S3_T2_PKT1_PKS4_PKS3_SB_21rocsparse_index_base_22rocsparse_matrix_type_20rocsparse_fill_mode_23rocsparse_storage_mode_P22rocsparse_data_status_.numbered_sgpr, 23
	.set _ZN9rocsparseL23check_matrix_csr_deviceILj256ELj16E21rocsparse_complex_numIdEliEEvT3_S3_T2_PKT1_PKS4_PKS3_SB_21rocsparse_index_base_22rocsparse_matrix_type_20rocsparse_fill_mode_23rocsparse_storage_mode_P22rocsparse_data_status_.num_named_barrier, 0
	.set _ZN9rocsparseL23check_matrix_csr_deviceILj256ELj16E21rocsparse_complex_numIdEliEEvT3_S3_T2_PKT1_PKS4_PKS3_SB_21rocsparse_index_base_22rocsparse_matrix_type_20rocsparse_fill_mode_23rocsparse_storage_mode_P22rocsparse_data_status_.private_seg_size, 0
	.set _ZN9rocsparseL23check_matrix_csr_deviceILj256ELj16E21rocsparse_complex_numIdEliEEvT3_S3_T2_PKT1_PKS4_PKS3_SB_21rocsparse_index_base_22rocsparse_matrix_type_20rocsparse_fill_mode_23rocsparse_storage_mode_P22rocsparse_data_status_.uses_vcc, 1
	.set _ZN9rocsparseL23check_matrix_csr_deviceILj256ELj16E21rocsparse_complex_numIdEliEEvT3_S3_T2_PKT1_PKS4_PKS3_SB_21rocsparse_index_base_22rocsparse_matrix_type_20rocsparse_fill_mode_23rocsparse_storage_mode_P22rocsparse_data_status_.uses_flat_scratch, 0
	.set _ZN9rocsparseL23check_matrix_csr_deviceILj256ELj16E21rocsparse_complex_numIdEliEEvT3_S3_T2_PKT1_PKS4_PKS3_SB_21rocsparse_index_base_22rocsparse_matrix_type_20rocsparse_fill_mode_23rocsparse_storage_mode_P22rocsparse_data_status_.has_dyn_sized_stack, 0
	.set _ZN9rocsparseL23check_matrix_csr_deviceILj256ELj16E21rocsparse_complex_numIdEliEEvT3_S3_T2_PKT1_PKS4_PKS3_SB_21rocsparse_index_base_22rocsparse_matrix_type_20rocsparse_fill_mode_23rocsparse_storage_mode_P22rocsparse_data_status_.has_recursion, 0
	.set _ZN9rocsparseL23check_matrix_csr_deviceILj256ELj16E21rocsparse_complex_numIdEliEEvT3_S3_T2_PKT1_PKS4_PKS3_SB_21rocsparse_index_base_22rocsparse_matrix_type_20rocsparse_fill_mode_23rocsparse_storage_mode_P22rocsparse_data_status_.has_indirect_call, 0
	.section	.AMDGPU.csdata,"",@progbits
; Kernel info:
; codeLenInByte = 1060
; TotalNumSgprs: 25
; NumVgprs: 20
; ScratchSize: 0
; MemoryBound: 0
; FloatMode: 240
; IeeeMode: 1
; LDSByteSize: 0 bytes/workgroup (compile time only)
; SGPRBlocks: 0
; VGPRBlocks: 1
; NumSGPRsForWavesPerEU: 25
; NumVGPRsForWavesPerEU: 20
; NamedBarCnt: 0
; Occupancy: 16
; WaveLimiterHint : 0
; COMPUTE_PGM_RSRC2:SCRATCH_EN: 0
; COMPUTE_PGM_RSRC2:USER_SGPR: 2
; COMPUTE_PGM_RSRC2:TRAP_HANDLER: 0
; COMPUTE_PGM_RSRC2:TGID_X_EN: 1
; COMPUTE_PGM_RSRC2:TGID_Y_EN: 0
; COMPUTE_PGM_RSRC2:TGID_Z_EN: 0
; COMPUTE_PGM_RSRC2:TIDIG_COMP_CNT: 0
	.section	.text._ZN9rocsparseL23check_matrix_csr_deviceILj256ELj32E21rocsparse_complex_numIdEliEEvT3_S3_T2_PKT1_PKS4_PKS3_SB_21rocsparse_index_base_22rocsparse_matrix_type_20rocsparse_fill_mode_23rocsparse_storage_mode_P22rocsparse_data_status_,"axG",@progbits,_ZN9rocsparseL23check_matrix_csr_deviceILj256ELj32E21rocsparse_complex_numIdEliEEvT3_S3_T2_PKT1_PKS4_PKS3_SB_21rocsparse_index_base_22rocsparse_matrix_type_20rocsparse_fill_mode_23rocsparse_storage_mode_P22rocsparse_data_status_,comdat
	.globl	_ZN9rocsparseL23check_matrix_csr_deviceILj256ELj32E21rocsparse_complex_numIdEliEEvT3_S3_T2_PKT1_PKS4_PKS3_SB_21rocsparse_index_base_22rocsparse_matrix_type_20rocsparse_fill_mode_23rocsparse_storage_mode_P22rocsparse_data_status_ ; -- Begin function _ZN9rocsparseL23check_matrix_csr_deviceILj256ELj32E21rocsparse_complex_numIdEliEEvT3_S3_T2_PKT1_PKS4_PKS3_SB_21rocsparse_index_base_22rocsparse_matrix_type_20rocsparse_fill_mode_23rocsparse_storage_mode_P22rocsparse_data_status_
	.p2align	8
	.type	_ZN9rocsparseL23check_matrix_csr_deviceILj256ELj32E21rocsparse_complex_numIdEliEEvT3_S3_T2_PKT1_PKS4_PKS3_SB_21rocsparse_index_base_22rocsparse_matrix_type_20rocsparse_fill_mode_23rocsparse_storage_mode_P22rocsparse_data_status_,@function
_ZN9rocsparseL23check_matrix_csr_deviceILj256ELj32E21rocsparse_complex_numIdEliEEvT3_S3_T2_PKT1_PKS4_PKS3_SB_21rocsparse_index_base_22rocsparse_matrix_type_20rocsparse_fill_mode_23rocsparse_storage_mode_P22rocsparse_data_status_: ; @_ZN9rocsparseL23check_matrix_csr_deviceILj256ELj32E21rocsparse_complex_numIdEliEEvT3_S3_T2_PKT1_PKS4_PKS3_SB_21rocsparse_index_base_22rocsparse_matrix_type_20rocsparse_fill_mode_23rocsparse_storage_mode_P22rocsparse_data_status_
; %bb.0:
	s_bfe_u32 s2, ttmp6, 0x4000c
	s_load_b64 s[12:13], s[0:1], 0x0
	s_add_co_i32 s2, s2, 1
	s_and_b32 s3, ttmp6, 15
	s_mul_i32 s2, ttmp9, s2
	s_getreg_b32 s4, hwreg(HW_REG_IB_STS2, 6, 4)
	s_add_co_i32 s3, s3, s2
	s_cmp_eq_u32 s4, 0
	s_cselect_b32 s2, ttmp9, s3
	s_delay_alu instid0(SALU_CYCLE_1) | instskip(SKIP_1) | instid1(VALU_DEP_1)
	v_lshl_or_b32 v1, s2, 8, v0
	s_mov_b32 s2, exec_lo
	v_lshrrev_b32_e32 v16, 5, v1
	s_wait_kmcnt 0x0
	s_delay_alu instid0(VALU_DEP_1)
	v_cmpx_gt_i32_e64 s12, v16
	s_cbranch_execz .LBB56_31
; %bb.1:
	s_load_b64 s[2:3], s[0:1], 0x18
	v_dual_lshlrev_b32 v1, 3, v16 :: v_dual_mov_b32 v17, 3
	s_wait_kmcnt 0x0
	global_load_b128 v[8:11], v1, s[2:3]
	s_wait_xcnt 0x0
	s_load_b64 s[2:3], s[2:3], 0x0
	s_wait_loadcnt 0x0
	s_wait_kmcnt 0x0
	v_sub_nc_u64_e64 v[4:5], v[10:11], s[2:3]
	v_sub_nc_u64_e64 v[6:7], v[8:9], s[2:3]
	v_cmp_lt_i64_e64 s2, v[10:11], v[8:9]
	s_delay_alu instid0(VALU_DEP_3) | instskip(NEXT) | instid1(VALU_DEP_3)
	v_cmp_gt_i64_e32 vcc_lo, 0, v[4:5]
	v_cmp_lt_i64_e64 s3, -1, v[6:7]
	s_or_b32 s2, vcc_lo, s2
	s_delay_alu instid0(SALU_CYCLE_1) | instskip(SKIP_2) | instid1(SALU_CYCLE_1)
	s_xor_b32 s4, s2, -1
	s_mov_b32 s2, -1
	s_and_b32 s3, s3, s4
	s_and_saveexec_b32 s12, s3
	s_cbranch_execz .LBB56_29
; %bb.2:
	v_dual_mov_b32 v1, 0 :: v_dual_bitop2_b32 v0, 31, v0 bitop3:0x40
	v_mov_b32_e32 v17, 3
	s_mov_b32 s2, 0
	s_mov_b32 s14, exec_lo
	s_delay_alu instid0(VALU_DEP_2) | instskip(NEXT) | instid1(VALU_DEP_1)
	v_add_nc_u64_e32 v[8:9], v[6:7], v[0:1]
	v_cmpx_lt_u64_e64 v[8:9], v[4:5]
	s_cbranch_execz .LBB56_28
; %bb.3:
	s_clause 0x1
	s_load_b256 s[4:11], s[0:1], 0x20
	s_load_b64 s[2:3], s[0:1], 0x10
	v_lshl_add_u64 v[0:1], v[8:9], 2, -4
	s_wait_kmcnt 0x0
	s_cmp_lg_u32 s9, 0
	v_lshl_add_u64 v[2:3], v[8:9], 4, s[2:3]
	s_delay_alu instid0(VALU_DEP_2)
	v_add_nc_u64_e32 v[10:11], s[6:7], v[0:1]
	v_add_nc_u64_e32 v[12:13], s[4:5], v[0:1]
	s_cselect_b32 s9, -1, 0
	s_cmp_lg_u32 s10, 0
	v_add_nc_u64_e32 v[14:15], 8, v[2:3]
	s_cselect_b32 s4, -1, 0
	s_cmp_lg_u32 s11, 0
	s_mov_b32 s5, 0
	s_cselect_b32 s6, -1, 0
                                        ; implicit-def: $sgpr7
                                        ; implicit-def: $sgpr10
                                        ; implicit-def: $sgpr11
	s_branch .LBB56_10
.LBB56_4:                               ;   in Loop: Header=BB56_10 Depth=1
	s_or_b32 exec_lo, exec_lo, s3
	s_delay_alu instid0(SALU_CYCLE_1)
	s_or_not1_b32 s22, s2, exec_lo
	s_or_not1_b32 s2, s19, exec_lo
.LBB56_5:                               ;   in Loop: Header=BB56_10 Depth=1
	s_or_b32 exec_lo, exec_lo, s20
	s_delay_alu instid0(SALU_CYCLE_1)
	s_or_not1_b32 s3, s22, exec_lo
	s_or_not1_b32 s2, s2, exec_lo
.LBB56_6:                               ;   in Loop: Header=BB56_10 Depth=1
	s_or_b32 exec_lo, exec_lo, s18
	s_delay_alu instid0(SALU_CYCLE_1)
	s_or_not1_b32 s18, s3, exec_lo
	s_or_not1_b32 s3, s2, exec_lo
.LBB56_7:                               ;   in Loop: Header=BB56_10 Depth=1
	s_or_b32 exec_lo, exec_lo, s17
	s_delay_alu instid0(SALU_CYCLE_1)
	s_or_not1_b32 s17, s18, exec_lo
	s_or_not1_b32 s2, s3, exec_lo
.LBB56_8:                               ;   in Loop: Header=BB56_10 Depth=1
	s_or_b32 exec_lo, exec_lo, s16
	s_delay_alu instid0(SALU_CYCLE_1)
	s_and_not1_b32 s3, s11, exec_lo
	s_and_b32 s11, s17, exec_lo
	s_and_not1_b32 s10, s10, exec_lo
	s_and_b32 s2, s2, exec_lo
	s_or_b32 s11, s3, s11
	s_or_b32 s10, s10, s2
.LBB56_9:                               ;   in Loop: Header=BB56_10 Depth=1
	s_or_b32 exec_lo, exec_lo, s15
	s_delay_alu instid0(SALU_CYCLE_1) | instskip(NEXT) | instid1(SALU_CYCLE_1)
	s_and_b32 s2, exec_lo, s10
	s_or_b32 s5, s2, s5
	s_and_not1_b32 s2, s7, exec_lo
	s_and_b32 s3, s11, exec_lo
	s_delay_alu instid0(SALU_CYCLE_1)
	s_or_b32 s7, s2, s3
	s_and_not1_b32 exec_lo, exec_lo, s5
	s_cbranch_execz .LBB56_27
.LBB56_10:                              ; =>This Inner Loop Header: Depth=1
	global_load_b32 v18, v[12:13], off offset:4
	v_mov_b32_e32 v17, 4
	s_or_b32 s11, s11, exec_lo
	s_or_b32 s10, s10, exec_lo
	s_wait_loadcnt 0x0
	v_subrev_nc_u32_e32 v19, s8, v18
	s_delay_alu instid0(VALU_DEP_1) | instskip(SKIP_2) | instid1(SALU_CYCLE_1)
	v_cmp_lt_i32_e32 vcc_lo, -1, v19
	v_cmp_gt_i32_e64 s2, s13, v19
	s_and_b32 s2, vcc_lo, s2
	s_and_saveexec_b32 s15, s2
	s_cbranch_execz .LBB56_9
; %bb.11:                               ;   in Loop: Header=BB56_10 Depth=1
	v_cmp_le_i64_e64 s19, v[8:9], v[6:7]
	v_mov_b32_e32 v17, 4
	s_mov_b32 s16, exec_lo
	s_mov_b32 s3, s19
	v_cmpx_gt_i64_e64 v[8:9], v[6:7]
	s_cbranch_execz .LBB56_13
; %bb.12:                               ;   in Loop: Header=BB56_10 Depth=1
	global_load_b64 v[0:1], v[10:11], off
	v_mov_b32_e32 v17, 5
	s_wait_loadcnt 0x0
	v_subrev_nc_u32_e32 v2, s8, v0
	v_cmp_ne_u32_e64 s3, v1, v0
	s_delay_alu instid0(VALU_DEP_2) | instskip(SKIP_2) | instid1(SALU_CYCLE_1)
	v_cmp_lt_i32_e32 vcc_lo, -1, v2
	v_cmp_gt_i32_e64 s2, s13, v2
	s_and_b32 s2, vcc_lo, s2
	s_xor_b32 s2, s2, -1
	s_delay_alu instid0(SALU_CYCLE_1) | instskip(SKIP_2) | instid1(SALU_CYCLE_1)
	s_or_b32 s2, s3, s2
	s_and_not1_b32 s3, s19, exec_lo
	s_and_b32 s2, s2, exec_lo
	s_or_b32 s3, s3, s2
.LBB56_13:                              ;   in Loop: Header=BB56_10 Depth=1
	s_or_b32 exec_lo, exec_lo, s16
	s_mov_b32 s2, -1
	s_mov_b32 s17, -1
	s_and_saveexec_b32 s16, s3
	s_cbranch_execz .LBB56_8
; %bb.14:                               ;   in Loop: Header=BB56_10 Depth=1
	global_load_b128 v[0:3], v[14:15], off offset:-8
	v_mov_b32_e32 v17, 1
	s_mov_b32 s3, -1
	s_mov_b32 s18, -1
	s_wait_loadcnt 0x0
	v_cmp_neq_f64_e32 vcc_lo, 0x7ff00000, v[0:1]
	v_cmp_neq_f64_e64 s2, 0x7ff00000, v[2:3]
	s_and_b32 s2, vcc_lo, s2
	s_delay_alu instid0(SALU_CYCLE_1)
	s_and_saveexec_b32 s17, s2
	s_cbranch_execz .LBB56_7
; %bb.15:                               ;   in Loop: Header=BB56_10 Depth=1
	v_mov_b32_e32 v17, 2
	s_mov_b32 s2, -1
	s_mov_b32 s18, exec_lo
	v_cmpx_o_f64_e32 v[0:1], v[2:3]
	s_cbranch_execz .LBB56_6
; %bb.16:                               ;   in Loop: Header=BB56_10 Depth=1
	s_and_b32 vcc_lo, exec_lo, s9
	s_cbranch_vccz .LBB56_19
; %bb.17:                               ;   in Loop: Header=BB56_10 Depth=1
	s_and_b32 vcc_lo, exec_lo, s4
	s_cbranch_vccz .LBB56_20
; %bb.18:                               ;   in Loop: Header=BB56_10 Depth=1
	v_cmp_le_i32_e32 vcc_lo, v16, v19
	s_mov_b32 s3, 7
	s_and_b32 s21, vcc_lo, exec_lo
	s_cbranch_execz .LBB56_21
	s_branch .LBB56_22
.LBB56_19:                              ;   in Loop: Header=BB56_10 Depth=1
	s_mov_b32 s3, 2
	s_mov_b32 s21, -1
	s_branch .LBB56_22
.LBB56_20:                              ;   in Loop: Header=BB56_10 Depth=1
	s_mov_b32 s21, 0
	s_mov_b32 s3, 2
.LBB56_21:                              ;   in Loop: Header=BB56_10 Depth=1
	v_cmp_ge_i32_e32 vcc_lo, v16, v19
	s_and_not1_b32 s20, s21, exec_lo
	s_mov_b32 s3, 7
	s_and_b32 s21, vcc_lo, exec_lo
	s_delay_alu instid0(SALU_CYCLE_1)
	s_or_b32 s21, s20, s21
.LBB56_22:                              ;   in Loop: Header=BB56_10 Depth=1
	v_mov_b32_e32 v17, s3
	s_mov_b32 s22, -1
	s_and_saveexec_b32 s20, s21
	s_cbranch_execz .LBB56_5
; %bb.23:                               ;   in Loop: Header=BB56_10 Depth=1
	v_mov_b32_e32 v17, s3
	s_nor_b32 s2, s6, s19
	s_mov_b32 s19, -1
	s_and_saveexec_b32 s21, s2
	s_cbranch_execz .LBB56_25
; %bb.24:                               ;   in Loop: Header=BB56_10 Depth=1
	global_load_b32 v0, v[12:13], off
	v_mov_b32_e32 v17, 6
	s_wait_loadcnt 0x0
	v_subrev_nc_u32_e32 v1, s8, v0
	v_cmp_gt_i32_e64 s3, v18, v0
	s_delay_alu instid0(VALU_DEP_2) | instskip(SKIP_2) | instid1(SALU_CYCLE_1)
	v_cmp_lt_i32_e32 vcc_lo, -1, v1
	v_cmp_gt_i32_e64 s2, s13, v1
	s_and_b32 s2, vcc_lo, s2
	s_xor_b32 s2, s2, -1
	s_delay_alu instid0(SALU_CYCLE_1) | instskip(NEXT) | instid1(SALU_CYCLE_1)
	s_or_b32 s2, s3, s2
	s_or_not1_b32 s22, s2, exec_lo
.LBB56_25:                              ;   in Loop: Header=BB56_10 Depth=1
	s_or_b32 exec_lo, exec_lo, s21
	s_mov_b32 s2, -1
	s_and_saveexec_b32 s3, s22
	s_cbranch_execz .LBB56_4
; %bb.26:                               ;   in Loop: Header=BB56_10 Depth=1
	v_add_nc_u64_e32 v[8:9], 32, v[8:9]
	v_add_nc_u64_e32 v[10:11], 0x80, v[10:11]
	;; [unrolled: 1-line block ×4, first 2 shown]
	s_xor_b32 s2, exec_lo, -1
	s_delay_alu instid0(VALU_DEP_4)
	v_cmp_ge_i64_e32 vcc_lo, v[8:9], v[4:5]
	s_or_not1_b32 s19, vcc_lo, exec_lo
	s_branch .LBB56_4
.LBB56_27:
	s_or_b32 exec_lo, exec_lo, s5
	s_delay_alu instid0(SALU_CYCLE_1)
	s_and_b32 s2, s7, exec_lo
.LBB56_28:
	s_or_b32 exec_lo, exec_lo, s14
	s_delay_alu instid0(SALU_CYCLE_1)
	s_or_not1_b32 s2, s2, exec_lo
.LBB56_29:
	s_or_b32 exec_lo, exec_lo, s12
	s_delay_alu instid0(SALU_CYCLE_1)
	s_and_b32 exec_lo, exec_lo, s2
	s_cbranch_execz .LBB56_31
; %bb.30:
	s_load_b64 s[0:1], s[0:1], 0x40
	v_mov_b32_e32 v0, 0
	s_wait_kmcnt 0x0
	global_store_b32 v0, v17, s[0:1]
.LBB56_31:
	s_endpgm
	.section	.rodata,"a",@progbits
	.p2align	6, 0x0
	.amdhsa_kernel _ZN9rocsparseL23check_matrix_csr_deviceILj256ELj32E21rocsparse_complex_numIdEliEEvT3_S3_T2_PKT1_PKS4_PKS3_SB_21rocsparse_index_base_22rocsparse_matrix_type_20rocsparse_fill_mode_23rocsparse_storage_mode_P22rocsparse_data_status_
		.amdhsa_group_segment_fixed_size 0
		.amdhsa_private_segment_fixed_size 0
		.amdhsa_kernarg_size 72
		.amdhsa_user_sgpr_count 2
		.amdhsa_user_sgpr_dispatch_ptr 0
		.amdhsa_user_sgpr_queue_ptr 0
		.amdhsa_user_sgpr_kernarg_segment_ptr 1
		.amdhsa_user_sgpr_dispatch_id 0
		.amdhsa_user_sgpr_kernarg_preload_length 0
		.amdhsa_user_sgpr_kernarg_preload_offset 0
		.amdhsa_user_sgpr_private_segment_size 0
		.amdhsa_wavefront_size32 1
		.amdhsa_uses_dynamic_stack 0
		.amdhsa_enable_private_segment 0
		.amdhsa_system_sgpr_workgroup_id_x 1
		.amdhsa_system_sgpr_workgroup_id_y 0
		.amdhsa_system_sgpr_workgroup_id_z 0
		.amdhsa_system_sgpr_workgroup_info 0
		.amdhsa_system_vgpr_workitem_id 0
		.amdhsa_next_free_vgpr 20
		.amdhsa_next_free_sgpr 23
		.amdhsa_named_barrier_count 0
		.amdhsa_reserve_vcc 1
		.amdhsa_float_round_mode_32 0
		.amdhsa_float_round_mode_16_64 0
		.amdhsa_float_denorm_mode_32 3
		.amdhsa_float_denorm_mode_16_64 3
		.amdhsa_fp16_overflow 0
		.amdhsa_memory_ordered 1
		.amdhsa_forward_progress 1
		.amdhsa_inst_pref_size 9
		.amdhsa_round_robin_scheduling 0
		.amdhsa_exception_fp_ieee_invalid_op 0
		.amdhsa_exception_fp_denorm_src 0
		.amdhsa_exception_fp_ieee_div_zero 0
		.amdhsa_exception_fp_ieee_overflow 0
		.amdhsa_exception_fp_ieee_underflow 0
		.amdhsa_exception_fp_ieee_inexact 0
		.amdhsa_exception_int_div_zero 0
	.end_amdhsa_kernel
	.section	.text._ZN9rocsparseL23check_matrix_csr_deviceILj256ELj32E21rocsparse_complex_numIdEliEEvT3_S3_T2_PKT1_PKS4_PKS3_SB_21rocsparse_index_base_22rocsparse_matrix_type_20rocsparse_fill_mode_23rocsparse_storage_mode_P22rocsparse_data_status_,"axG",@progbits,_ZN9rocsparseL23check_matrix_csr_deviceILj256ELj32E21rocsparse_complex_numIdEliEEvT3_S3_T2_PKT1_PKS4_PKS3_SB_21rocsparse_index_base_22rocsparse_matrix_type_20rocsparse_fill_mode_23rocsparse_storage_mode_P22rocsparse_data_status_,comdat
.Lfunc_end56:
	.size	_ZN9rocsparseL23check_matrix_csr_deviceILj256ELj32E21rocsparse_complex_numIdEliEEvT3_S3_T2_PKT1_PKS4_PKS3_SB_21rocsparse_index_base_22rocsparse_matrix_type_20rocsparse_fill_mode_23rocsparse_storage_mode_P22rocsparse_data_status_, .Lfunc_end56-_ZN9rocsparseL23check_matrix_csr_deviceILj256ELj32E21rocsparse_complex_numIdEliEEvT3_S3_T2_PKT1_PKS4_PKS3_SB_21rocsparse_index_base_22rocsparse_matrix_type_20rocsparse_fill_mode_23rocsparse_storage_mode_P22rocsparse_data_status_
                                        ; -- End function
	.set _ZN9rocsparseL23check_matrix_csr_deviceILj256ELj32E21rocsparse_complex_numIdEliEEvT3_S3_T2_PKT1_PKS4_PKS3_SB_21rocsparse_index_base_22rocsparse_matrix_type_20rocsparse_fill_mode_23rocsparse_storage_mode_P22rocsparse_data_status_.num_vgpr, 20
	.set _ZN9rocsparseL23check_matrix_csr_deviceILj256ELj32E21rocsparse_complex_numIdEliEEvT3_S3_T2_PKT1_PKS4_PKS3_SB_21rocsparse_index_base_22rocsparse_matrix_type_20rocsparse_fill_mode_23rocsparse_storage_mode_P22rocsparse_data_status_.num_agpr, 0
	.set _ZN9rocsparseL23check_matrix_csr_deviceILj256ELj32E21rocsparse_complex_numIdEliEEvT3_S3_T2_PKT1_PKS4_PKS3_SB_21rocsparse_index_base_22rocsparse_matrix_type_20rocsparse_fill_mode_23rocsparse_storage_mode_P22rocsparse_data_status_.numbered_sgpr, 23
	.set _ZN9rocsparseL23check_matrix_csr_deviceILj256ELj32E21rocsparse_complex_numIdEliEEvT3_S3_T2_PKT1_PKS4_PKS3_SB_21rocsparse_index_base_22rocsparse_matrix_type_20rocsparse_fill_mode_23rocsparse_storage_mode_P22rocsparse_data_status_.num_named_barrier, 0
	.set _ZN9rocsparseL23check_matrix_csr_deviceILj256ELj32E21rocsparse_complex_numIdEliEEvT3_S3_T2_PKT1_PKS4_PKS3_SB_21rocsparse_index_base_22rocsparse_matrix_type_20rocsparse_fill_mode_23rocsparse_storage_mode_P22rocsparse_data_status_.private_seg_size, 0
	.set _ZN9rocsparseL23check_matrix_csr_deviceILj256ELj32E21rocsparse_complex_numIdEliEEvT3_S3_T2_PKT1_PKS4_PKS3_SB_21rocsparse_index_base_22rocsparse_matrix_type_20rocsparse_fill_mode_23rocsparse_storage_mode_P22rocsparse_data_status_.uses_vcc, 1
	.set _ZN9rocsparseL23check_matrix_csr_deviceILj256ELj32E21rocsparse_complex_numIdEliEEvT3_S3_T2_PKT1_PKS4_PKS3_SB_21rocsparse_index_base_22rocsparse_matrix_type_20rocsparse_fill_mode_23rocsparse_storage_mode_P22rocsparse_data_status_.uses_flat_scratch, 0
	.set _ZN9rocsparseL23check_matrix_csr_deviceILj256ELj32E21rocsparse_complex_numIdEliEEvT3_S3_T2_PKT1_PKS4_PKS3_SB_21rocsparse_index_base_22rocsparse_matrix_type_20rocsparse_fill_mode_23rocsparse_storage_mode_P22rocsparse_data_status_.has_dyn_sized_stack, 0
	.set _ZN9rocsparseL23check_matrix_csr_deviceILj256ELj32E21rocsparse_complex_numIdEliEEvT3_S3_T2_PKT1_PKS4_PKS3_SB_21rocsparse_index_base_22rocsparse_matrix_type_20rocsparse_fill_mode_23rocsparse_storage_mode_P22rocsparse_data_status_.has_recursion, 0
	.set _ZN9rocsparseL23check_matrix_csr_deviceILj256ELj32E21rocsparse_complex_numIdEliEEvT3_S3_T2_PKT1_PKS4_PKS3_SB_21rocsparse_index_base_22rocsparse_matrix_type_20rocsparse_fill_mode_23rocsparse_storage_mode_P22rocsparse_data_status_.has_indirect_call, 0
	.section	.AMDGPU.csdata,"",@progbits
; Kernel info:
; codeLenInByte = 1068
; TotalNumSgprs: 25
; NumVgprs: 20
; ScratchSize: 0
; MemoryBound: 0
; FloatMode: 240
; IeeeMode: 1
; LDSByteSize: 0 bytes/workgroup (compile time only)
; SGPRBlocks: 0
; VGPRBlocks: 1
; NumSGPRsForWavesPerEU: 25
; NumVGPRsForWavesPerEU: 20
; NamedBarCnt: 0
; Occupancy: 16
; WaveLimiterHint : 0
; COMPUTE_PGM_RSRC2:SCRATCH_EN: 0
; COMPUTE_PGM_RSRC2:USER_SGPR: 2
; COMPUTE_PGM_RSRC2:TRAP_HANDLER: 0
; COMPUTE_PGM_RSRC2:TGID_X_EN: 1
; COMPUTE_PGM_RSRC2:TGID_Y_EN: 0
; COMPUTE_PGM_RSRC2:TGID_Z_EN: 0
; COMPUTE_PGM_RSRC2:TIDIG_COMP_CNT: 0
	.section	.text._ZN9rocsparseL23check_matrix_csr_deviceILj256ELj64E21rocsparse_complex_numIdEliEEvT3_S3_T2_PKT1_PKS4_PKS3_SB_21rocsparse_index_base_22rocsparse_matrix_type_20rocsparse_fill_mode_23rocsparse_storage_mode_P22rocsparse_data_status_,"axG",@progbits,_ZN9rocsparseL23check_matrix_csr_deviceILj256ELj64E21rocsparse_complex_numIdEliEEvT3_S3_T2_PKT1_PKS4_PKS3_SB_21rocsparse_index_base_22rocsparse_matrix_type_20rocsparse_fill_mode_23rocsparse_storage_mode_P22rocsparse_data_status_,comdat
	.globl	_ZN9rocsparseL23check_matrix_csr_deviceILj256ELj64E21rocsparse_complex_numIdEliEEvT3_S3_T2_PKT1_PKS4_PKS3_SB_21rocsparse_index_base_22rocsparse_matrix_type_20rocsparse_fill_mode_23rocsparse_storage_mode_P22rocsparse_data_status_ ; -- Begin function _ZN9rocsparseL23check_matrix_csr_deviceILj256ELj64E21rocsparse_complex_numIdEliEEvT3_S3_T2_PKT1_PKS4_PKS3_SB_21rocsparse_index_base_22rocsparse_matrix_type_20rocsparse_fill_mode_23rocsparse_storage_mode_P22rocsparse_data_status_
	.p2align	8
	.type	_ZN9rocsparseL23check_matrix_csr_deviceILj256ELj64E21rocsparse_complex_numIdEliEEvT3_S3_T2_PKT1_PKS4_PKS3_SB_21rocsparse_index_base_22rocsparse_matrix_type_20rocsparse_fill_mode_23rocsparse_storage_mode_P22rocsparse_data_status_,@function
_ZN9rocsparseL23check_matrix_csr_deviceILj256ELj64E21rocsparse_complex_numIdEliEEvT3_S3_T2_PKT1_PKS4_PKS3_SB_21rocsparse_index_base_22rocsparse_matrix_type_20rocsparse_fill_mode_23rocsparse_storage_mode_P22rocsparse_data_status_: ; @_ZN9rocsparseL23check_matrix_csr_deviceILj256ELj64E21rocsparse_complex_numIdEliEEvT3_S3_T2_PKT1_PKS4_PKS3_SB_21rocsparse_index_base_22rocsparse_matrix_type_20rocsparse_fill_mode_23rocsparse_storage_mode_P22rocsparse_data_status_
; %bb.0:
	s_bfe_u32 s2, ttmp6, 0x4000c
	s_load_b64 s[12:13], s[0:1], 0x0
	s_add_co_i32 s2, s2, 1
	s_and_b32 s3, ttmp6, 15
	s_mul_i32 s2, ttmp9, s2
	s_getreg_b32 s4, hwreg(HW_REG_IB_STS2, 6, 4)
	s_add_co_i32 s3, s3, s2
	s_cmp_eq_u32 s4, 0
	s_cselect_b32 s2, ttmp9, s3
	s_delay_alu instid0(SALU_CYCLE_1) | instskip(SKIP_1) | instid1(VALU_DEP_1)
	v_lshl_or_b32 v1, s2, 8, v0
	s_mov_b32 s2, exec_lo
	v_lshrrev_b32_e32 v16, 6, v1
	s_wait_kmcnt 0x0
	s_delay_alu instid0(VALU_DEP_1)
	v_cmpx_gt_i32_e64 s12, v16
	s_cbranch_execz .LBB57_31
; %bb.1:
	s_load_b64 s[2:3], s[0:1], 0x18
	v_dual_lshlrev_b32 v1, 3, v16 :: v_dual_mov_b32 v17, 3
	s_wait_kmcnt 0x0
	global_load_b128 v[8:11], v1, s[2:3]
	s_wait_xcnt 0x0
	s_load_b64 s[2:3], s[2:3], 0x0
	s_wait_loadcnt 0x0
	s_wait_kmcnt 0x0
	v_sub_nc_u64_e64 v[4:5], v[10:11], s[2:3]
	v_sub_nc_u64_e64 v[6:7], v[8:9], s[2:3]
	v_cmp_lt_i64_e64 s2, v[10:11], v[8:9]
	s_delay_alu instid0(VALU_DEP_3) | instskip(NEXT) | instid1(VALU_DEP_3)
	v_cmp_gt_i64_e32 vcc_lo, 0, v[4:5]
	v_cmp_lt_i64_e64 s3, -1, v[6:7]
	s_or_b32 s2, vcc_lo, s2
	s_delay_alu instid0(SALU_CYCLE_1) | instskip(SKIP_2) | instid1(SALU_CYCLE_1)
	s_xor_b32 s4, s2, -1
	s_mov_b32 s2, -1
	s_and_b32 s3, s3, s4
	s_and_saveexec_b32 s12, s3
	s_cbranch_execz .LBB57_29
; %bb.2:
	v_dual_mov_b32 v1, 0 :: v_dual_bitop2_b32 v0, 63, v0 bitop3:0x40
	v_mov_b32_e32 v17, 3
	s_mov_b32 s2, 0
	s_mov_b32 s14, exec_lo
	s_delay_alu instid0(VALU_DEP_2) | instskip(NEXT) | instid1(VALU_DEP_1)
	v_add_nc_u64_e32 v[8:9], v[6:7], v[0:1]
	v_cmpx_lt_u64_e64 v[8:9], v[4:5]
	s_cbranch_execz .LBB57_28
; %bb.3:
	s_clause 0x1
	s_load_b256 s[4:11], s[0:1], 0x20
	s_load_b64 s[2:3], s[0:1], 0x10
	v_lshl_add_u64 v[0:1], v[8:9], 2, -4
	s_wait_kmcnt 0x0
	s_cmp_lg_u32 s9, 0
	v_lshl_add_u64 v[2:3], v[8:9], 4, s[2:3]
	s_delay_alu instid0(VALU_DEP_2)
	v_add_nc_u64_e32 v[10:11], s[6:7], v[0:1]
	v_add_nc_u64_e32 v[12:13], s[4:5], v[0:1]
	s_cselect_b32 s9, -1, 0
	s_cmp_lg_u32 s10, 0
	v_add_nc_u64_e32 v[14:15], 8, v[2:3]
	s_cselect_b32 s4, -1, 0
	s_cmp_lg_u32 s11, 0
	s_mov_b32 s5, 0
	s_cselect_b32 s6, -1, 0
                                        ; implicit-def: $sgpr7
                                        ; implicit-def: $sgpr10
                                        ; implicit-def: $sgpr11
	s_branch .LBB57_10
.LBB57_4:                               ;   in Loop: Header=BB57_10 Depth=1
	s_or_b32 exec_lo, exec_lo, s3
	s_delay_alu instid0(SALU_CYCLE_1)
	s_or_not1_b32 s22, s2, exec_lo
	s_or_not1_b32 s2, s19, exec_lo
.LBB57_5:                               ;   in Loop: Header=BB57_10 Depth=1
	s_or_b32 exec_lo, exec_lo, s20
	s_delay_alu instid0(SALU_CYCLE_1)
	s_or_not1_b32 s3, s22, exec_lo
	s_or_not1_b32 s2, s2, exec_lo
.LBB57_6:                               ;   in Loop: Header=BB57_10 Depth=1
	s_or_b32 exec_lo, exec_lo, s18
	s_delay_alu instid0(SALU_CYCLE_1)
	s_or_not1_b32 s18, s3, exec_lo
	s_or_not1_b32 s3, s2, exec_lo
.LBB57_7:                               ;   in Loop: Header=BB57_10 Depth=1
	s_or_b32 exec_lo, exec_lo, s17
	s_delay_alu instid0(SALU_CYCLE_1)
	s_or_not1_b32 s17, s18, exec_lo
	s_or_not1_b32 s2, s3, exec_lo
.LBB57_8:                               ;   in Loop: Header=BB57_10 Depth=1
	s_or_b32 exec_lo, exec_lo, s16
	s_delay_alu instid0(SALU_CYCLE_1)
	s_and_not1_b32 s3, s11, exec_lo
	s_and_b32 s11, s17, exec_lo
	s_and_not1_b32 s10, s10, exec_lo
	s_and_b32 s2, s2, exec_lo
	s_or_b32 s11, s3, s11
	s_or_b32 s10, s10, s2
.LBB57_9:                               ;   in Loop: Header=BB57_10 Depth=1
	s_or_b32 exec_lo, exec_lo, s15
	s_delay_alu instid0(SALU_CYCLE_1) | instskip(NEXT) | instid1(SALU_CYCLE_1)
	s_and_b32 s2, exec_lo, s10
	s_or_b32 s5, s2, s5
	s_and_not1_b32 s2, s7, exec_lo
	s_and_b32 s3, s11, exec_lo
	s_delay_alu instid0(SALU_CYCLE_1)
	s_or_b32 s7, s2, s3
	s_and_not1_b32 exec_lo, exec_lo, s5
	s_cbranch_execz .LBB57_27
.LBB57_10:                              ; =>This Inner Loop Header: Depth=1
	global_load_b32 v18, v[12:13], off offset:4
	v_mov_b32_e32 v17, 4
	s_or_b32 s11, s11, exec_lo
	s_or_b32 s10, s10, exec_lo
	s_wait_loadcnt 0x0
	v_subrev_nc_u32_e32 v19, s8, v18
	s_delay_alu instid0(VALU_DEP_1) | instskip(SKIP_2) | instid1(SALU_CYCLE_1)
	v_cmp_lt_i32_e32 vcc_lo, -1, v19
	v_cmp_gt_i32_e64 s2, s13, v19
	s_and_b32 s2, vcc_lo, s2
	s_and_saveexec_b32 s15, s2
	s_cbranch_execz .LBB57_9
; %bb.11:                               ;   in Loop: Header=BB57_10 Depth=1
	v_cmp_le_i64_e64 s19, v[8:9], v[6:7]
	v_mov_b32_e32 v17, 4
	s_mov_b32 s16, exec_lo
	s_mov_b32 s3, s19
	v_cmpx_gt_i64_e64 v[8:9], v[6:7]
	s_cbranch_execz .LBB57_13
; %bb.12:                               ;   in Loop: Header=BB57_10 Depth=1
	global_load_b64 v[0:1], v[10:11], off
	v_mov_b32_e32 v17, 5
	s_wait_loadcnt 0x0
	v_subrev_nc_u32_e32 v2, s8, v0
	v_cmp_ne_u32_e64 s3, v1, v0
	s_delay_alu instid0(VALU_DEP_2) | instskip(SKIP_2) | instid1(SALU_CYCLE_1)
	v_cmp_lt_i32_e32 vcc_lo, -1, v2
	v_cmp_gt_i32_e64 s2, s13, v2
	s_and_b32 s2, vcc_lo, s2
	s_xor_b32 s2, s2, -1
	s_delay_alu instid0(SALU_CYCLE_1) | instskip(SKIP_2) | instid1(SALU_CYCLE_1)
	s_or_b32 s2, s3, s2
	s_and_not1_b32 s3, s19, exec_lo
	s_and_b32 s2, s2, exec_lo
	s_or_b32 s3, s3, s2
.LBB57_13:                              ;   in Loop: Header=BB57_10 Depth=1
	s_or_b32 exec_lo, exec_lo, s16
	s_mov_b32 s2, -1
	s_mov_b32 s17, -1
	s_and_saveexec_b32 s16, s3
	s_cbranch_execz .LBB57_8
; %bb.14:                               ;   in Loop: Header=BB57_10 Depth=1
	global_load_b128 v[0:3], v[14:15], off offset:-8
	v_mov_b32_e32 v17, 1
	s_mov_b32 s3, -1
	s_mov_b32 s18, -1
	s_wait_loadcnt 0x0
	v_cmp_neq_f64_e32 vcc_lo, 0x7ff00000, v[0:1]
	v_cmp_neq_f64_e64 s2, 0x7ff00000, v[2:3]
	s_and_b32 s2, vcc_lo, s2
	s_delay_alu instid0(SALU_CYCLE_1)
	s_and_saveexec_b32 s17, s2
	s_cbranch_execz .LBB57_7
; %bb.15:                               ;   in Loop: Header=BB57_10 Depth=1
	v_mov_b32_e32 v17, 2
	s_mov_b32 s2, -1
	s_mov_b32 s18, exec_lo
	v_cmpx_o_f64_e32 v[0:1], v[2:3]
	s_cbranch_execz .LBB57_6
; %bb.16:                               ;   in Loop: Header=BB57_10 Depth=1
	s_and_b32 vcc_lo, exec_lo, s9
	s_cbranch_vccz .LBB57_19
; %bb.17:                               ;   in Loop: Header=BB57_10 Depth=1
	s_and_b32 vcc_lo, exec_lo, s4
	s_cbranch_vccz .LBB57_20
; %bb.18:                               ;   in Loop: Header=BB57_10 Depth=1
	v_cmp_le_i32_e32 vcc_lo, v16, v19
	s_mov_b32 s3, 7
	s_and_b32 s21, vcc_lo, exec_lo
	s_cbranch_execz .LBB57_21
	s_branch .LBB57_22
.LBB57_19:                              ;   in Loop: Header=BB57_10 Depth=1
	s_mov_b32 s3, 2
	s_mov_b32 s21, -1
	s_branch .LBB57_22
.LBB57_20:                              ;   in Loop: Header=BB57_10 Depth=1
	s_mov_b32 s21, 0
	s_mov_b32 s3, 2
.LBB57_21:                              ;   in Loop: Header=BB57_10 Depth=1
	v_cmp_ge_i32_e32 vcc_lo, v16, v19
	s_and_not1_b32 s20, s21, exec_lo
	s_mov_b32 s3, 7
	s_and_b32 s21, vcc_lo, exec_lo
	s_delay_alu instid0(SALU_CYCLE_1)
	s_or_b32 s21, s20, s21
.LBB57_22:                              ;   in Loop: Header=BB57_10 Depth=1
	v_mov_b32_e32 v17, s3
	s_mov_b32 s22, -1
	s_and_saveexec_b32 s20, s21
	s_cbranch_execz .LBB57_5
; %bb.23:                               ;   in Loop: Header=BB57_10 Depth=1
	v_mov_b32_e32 v17, s3
	s_nor_b32 s2, s6, s19
	s_mov_b32 s19, -1
	s_and_saveexec_b32 s21, s2
	s_cbranch_execz .LBB57_25
; %bb.24:                               ;   in Loop: Header=BB57_10 Depth=1
	global_load_b32 v0, v[12:13], off
	v_mov_b32_e32 v17, 6
	s_wait_loadcnt 0x0
	v_subrev_nc_u32_e32 v1, s8, v0
	v_cmp_gt_i32_e64 s3, v18, v0
	s_delay_alu instid0(VALU_DEP_2) | instskip(SKIP_2) | instid1(SALU_CYCLE_1)
	v_cmp_lt_i32_e32 vcc_lo, -1, v1
	v_cmp_gt_i32_e64 s2, s13, v1
	s_and_b32 s2, vcc_lo, s2
	s_xor_b32 s2, s2, -1
	s_delay_alu instid0(SALU_CYCLE_1) | instskip(NEXT) | instid1(SALU_CYCLE_1)
	s_or_b32 s2, s3, s2
	s_or_not1_b32 s22, s2, exec_lo
.LBB57_25:                              ;   in Loop: Header=BB57_10 Depth=1
	s_or_b32 exec_lo, exec_lo, s21
	s_mov_b32 s2, -1
	s_and_saveexec_b32 s3, s22
	s_cbranch_execz .LBB57_4
; %bb.26:                               ;   in Loop: Header=BB57_10 Depth=1
	v_add_nc_u64_e32 v[8:9], 64, v[8:9]
	v_add_nc_u64_e32 v[10:11], 0x100, v[10:11]
	;; [unrolled: 1-line block ×4, first 2 shown]
	s_xor_b32 s2, exec_lo, -1
	s_delay_alu instid0(VALU_DEP_4)
	v_cmp_ge_i64_e32 vcc_lo, v[8:9], v[4:5]
	s_or_not1_b32 s19, vcc_lo, exec_lo
	s_branch .LBB57_4
.LBB57_27:
	s_or_b32 exec_lo, exec_lo, s5
	s_delay_alu instid0(SALU_CYCLE_1)
	s_and_b32 s2, s7, exec_lo
.LBB57_28:
	s_or_b32 exec_lo, exec_lo, s14
	s_delay_alu instid0(SALU_CYCLE_1)
	s_or_not1_b32 s2, s2, exec_lo
.LBB57_29:
	s_or_b32 exec_lo, exec_lo, s12
	s_delay_alu instid0(SALU_CYCLE_1)
	s_and_b32 exec_lo, exec_lo, s2
	s_cbranch_execz .LBB57_31
; %bb.30:
	s_load_b64 s[0:1], s[0:1], 0x40
	v_mov_b32_e32 v0, 0
	s_wait_kmcnt 0x0
	global_store_b32 v0, v17, s[0:1]
.LBB57_31:
	s_endpgm
	.section	.rodata,"a",@progbits
	.p2align	6, 0x0
	.amdhsa_kernel _ZN9rocsparseL23check_matrix_csr_deviceILj256ELj64E21rocsparse_complex_numIdEliEEvT3_S3_T2_PKT1_PKS4_PKS3_SB_21rocsparse_index_base_22rocsparse_matrix_type_20rocsparse_fill_mode_23rocsparse_storage_mode_P22rocsparse_data_status_
		.amdhsa_group_segment_fixed_size 0
		.amdhsa_private_segment_fixed_size 0
		.amdhsa_kernarg_size 72
		.amdhsa_user_sgpr_count 2
		.amdhsa_user_sgpr_dispatch_ptr 0
		.amdhsa_user_sgpr_queue_ptr 0
		.amdhsa_user_sgpr_kernarg_segment_ptr 1
		.amdhsa_user_sgpr_dispatch_id 0
		.amdhsa_user_sgpr_kernarg_preload_length 0
		.amdhsa_user_sgpr_kernarg_preload_offset 0
		.amdhsa_user_sgpr_private_segment_size 0
		.amdhsa_wavefront_size32 1
		.amdhsa_uses_dynamic_stack 0
		.amdhsa_enable_private_segment 0
		.amdhsa_system_sgpr_workgroup_id_x 1
		.amdhsa_system_sgpr_workgroup_id_y 0
		.amdhsa_system_sgpr_workgroup_id_z 0
		.amdhsa_system_sgpr_workgroup_info 0
		.amdhsa_system_vgpr_workitem_id 0
		.amdhsa_next_free_vgpr 20
		.amdhsa_next_free_sgpr 23
		.amdhsa_named_barrier_count 0
		.amdhsa_reserve_vcc 1
		.amdhsa_float_round_mode_32 0
		.amdhsa_float_round_mode_16_64 0
		.amdhsa_float_denorm_mode_32 3
		.amdhsa_float_denorm_mode_16_64 3
		.amdhsa_fp16_overflow 0
		.amdhsa_memory_ordered 1
		.amdhsa_forward_progress 1
		.amdhsa_inst_pref_size 9
		.amdhsa_round_robin_scheduling 0
		.amdhsa_exception_fp_ieee_invalid_op 0
		.amdhsa_exception_fp_denorm_src 0
		.amdhsa_exception_fp_ieee_div_zero 0
		.amdhsa_exception_fp_ieee_overflow 0
		.amdhsa_exception_fp_ieee_underflow 0
		.amdhsa_exception_fp_ieee_inexact 0
		.amdhsa_exception_int_div_zero 0
	.end_amdhsa_kernel
	.section	.text._ZN9rocsparseL23check_matrix_csr_deviceILj256ELj64E21rocsparse_complex_numIdEliEEvT3_S3_T2_PKT1_PKS4_PKS3_SB_21rocsparse_index_base_22rocsparse_matrix_type_20rocsparse_fill_mode_23rocsparse_storage_mode_P22rocsparse_data_status_,"axG",@progbits,_ZN9rocsparseL23check_matrix_csr_deviceILj256ELj64E21rocsparse_complex_numIdEliEEvT3_S3_T2_PKT1_PKS4_PKS3_SB_21rocsparse_index_base_22rocsparse_matrix_type_20rocsparse_fill_mode_23rocsparse_storage_mode_P22rocsparse_data_status_,comdat
.Lfunc_end57:
	.size	_ZN9rocsparseL23check_matrix_csr_deviceILj256ELj64E21rocsparse_complex_numIdEliEEvT3_S3_T2_PKT1_PKS4_PKS3_SB_21rocsparse_index_base_22rocsparse_matrix_type_20rocsparse_fill_mode_23rocsparse_storage_mode_P22rocsparse_data_status_, .Lfunc_end57-_ZN9rocsparseL23check_matrix_csr_deviceILj256ELj64E21rocsparse_complex_numIdEliEEvT3_S3_T2_PKT1_PKS4_PKS3_SB_21rocsparse_index_base_22rocsparse_matrix_type_20rocsparse_fill_mode_23rocsparse_storage_mode_P22rocsparse_data_status_
                                        ; -- End function
	.set _ZN9rocsparseL23check_matrix_csr_deviceILj256ELj64E21rocsparse_complex_numIdEliEEvT3_S3_T2_PKT1_PKS4_PKS3_SB_21rocsparse_index_base_22rocsparse_matrix_type_20rocsparse_fill_mode_23rocsparse_storage_mode_P22rocsparse_data_status_.num_vgpr, 20
	.set _ZN9rocsparseL23check_matrix_csr_deviceILj256ELj64E21rocsparse_complex_numIdEliEEvT3_S3_T2_PKT1_PKS4_PKS3_SB_21rocsparse_index_base_22rocsparse_matrix_type_20rocsparse_fill_mode_23rocsparse_storage_mode_P22rocsparse_data_status_.num_agpr, 0
	.set _ZN9rocsparseL23check_matrix_csr_deviceILj256ELj64E21rocsparse_complex_numIdEliEEvT3_S3_T2_PKT1_PKS4_PKS3_SB_21rocsparse_index_base_22rocsparse_matrix_type_20rocsparse_fill_mode_23rocsparse_storage_mode_P22rocsparse_data_status_.numbered_sgpr, 23
	.set _ZN9rocsparseL23check_matrix_csr_deviceILj256ELj64E21rocsparse_complex_numIdEliEEvT3_S3_T2_PKT1_PKS4_PKS3_SB_21rocsparse_index_base_22rocsparse_matrix_type_20rocsparse_fill_mode_23rocsparse_storage_mode_P22rocsparse_data_status_.num_named_barrier, 0
	.set _ZN9rocsparseL23check_matrix_csr_deviceILj256ELj64E21rocsparse_complex_numIdEliEEvT3_S3_T2_PKT1_PKS4_PKS3_SB_21rocsparse_index_base_22rocsparse_matrix_type_20rocsparse_fill_mode_23rocsparse_storage_mode_P22rocsparse_data_status_.private_seg_size, 0
	.set _ZN9rocsparseL23check_matrix_csr_deviceILj256ELj64E21rocsparse_complex_numIdEliEEvT3_S3_T2_PKT1_PKS4_PKS3_SB_21rocsparse_index_base_22rocsparse_matrix_type_20rocsparse_fill_mode_23rocsparse_storage_mode_P22rocsparse_data_status_.uses_vcc, 1
	.set _ZN9rocsparseL23check_matrix_csr_deviceILj256ELj64E21rocsparse_complex_numIdEliEEvT3_S3_T2_PKT1_PKS4_PKS3_SB_21rocsparse_index_base_22rocsparse_matrix_type_20rocsparse_fill_mode_23rocsparse_storage_mode_P22rocsparse_data_status_.uses_flat_scratch, 0
	.set _ZN9rocsparseL23check_matrix_csr_deviceILj256ELj64E21rocsparse_complex_numIdEliEEvT3_S3_T2_PKT1_PKS4_PKS3_SB_21rocsparse_index_base_22rocsparse_matrix_type_20rocsparse_fill_mode_23rocsparse_storage_mode_P22rocsparse_data_status_.has_dyn_sized_stack, 0
	.set _ZN9rocsparseL23check_matrix_csr_deviceILj256ELj64E21rocsparse_complex_numIdEliEEvT3_S3_T2_PKT1_PKS4_PKS3_SB_21rocsparse_index_base_22rocsparse_matrix_type_20rocsparse_fill_mode_23rocsparse_storage_mode_P22rocsparse_data_status_.has_recursion, 0
	.set _ZN9rocsparseL23check_matrix_csr_deviceILj256ELj64E21rocsparse_complex_numIdEliEEvT3_S3_T2_PKT1_PKS4_PKS3_SB_21rocsparse_index_base_22rocsparse_matrix_type_20rocsparse_fill_mode_23rocsparse_storage_mode_P22rocsparse_data_status_.has_indirect_call, 0
	.section	.AMDGPU.csdata,"",@progbits
; Kernel info:
; codeLenInByte = 1068
; TotalNumSgprs: 25
; NumVgprs: 20
; ScratchSize: 0
; MemoryBound: 0
; FloatMode: 240
; IeeeMode: 1
; LDSByteSize: 0 bytes/workgroup (compile time only)
; SGPRBlocks: 0
; VGPRBlocks: 1
; NumSGPRsForWavesPerEU: 25
; NumVGPRsForWavesPerEU: 20
; NamedBarCnt: 0
; Occupancy: 16
; WaveLimiterHint : 0
; COMPUTE_PGM_RSRC2:SCRATCH_EN: 0
; COMPUTE_PGM_RSRC2:USER_SGPR: 2
; COMPUTE_PGM_RSRC2:TRAP_HANDLER: 0
; COMPUTE_PGM_RSRC2:TGID_X_EN: 1
; COMPUTE_PGM_RSRC2:TGID_Y_EN: 0
; COMPUTE_PGM_RSRC2:TGID_Z_EN: 0
; COMPUTE_PGM_RSRC2:TIDIG_COMP_CNT: 0
	.section	.text._ZN9rocsparseL23check_matrix_csr_deviceILj256ELj128E21rocsparse_complex_numIdEliEEvT3_S3_T2_PKT1_PKS4_PKS3_SB_21rocsparse_index_base_22rocsparse_matrix_type_20rocsparse_fill_mode_23rocsparse_storage_mode_P22rocsparse_data_status_,"axG",@progbits,_ZN9rocsparseL23check_matrix_csr_deviceILj256ELj128E21rocsparse_complex_numIdEliEEvT3_S3_T2_PKT1_PKS4_PKS3_SB_21rocsparse_index_base_22rocsparse_matrix_type_20rocsparse_fill_mode_23rocsparse_storage_mode_P22rocsparse_data_status_,comdat
	.globl	_ZN9rocsparseL23check_matrix_csr_deviceILj256ELj128E21rocsparse_complex_numIdEliEEvT3_S3_T2_PKT1_PKS4_PKS3_SB_21rocsparse_index_base_22rocsparse_matrix_type_20rocsparse_fill_mode_23rocsparse_storage_mode_P22rocsparse_data_status_ ; -- Begin function _ZN9rocsparseL23check_matrix_csr_deviceILj256ELj128E21rocsparse_complex_numIdEliEEvT3_S3_T2_PKT1_PKS4_PKS3_SB_21rocsparse_index_base_22rocsparse_matrix_type_20rocsparse_fill_mode_23rocsparse_storage_mode_P22rocsparse_data_status_
	.p2align	8
	.type	_ZN9rocsparseL23check_matrix_csr_deviceILj256ELj128E21rocsparse_complex_numIdEliEEvT3_S3_T2_PKT1_PKS4_PKS3_SB_21rocsparse_index_base_22rocsparse_matrix_type_20rocsparse_fill_mode_23rocsparse_storage_mode_P22rocsparse_data_status_,@function
_ZN9rocsparseL23check_matrix_csr_deviceILj256ELj128E21rocsparse_complex_numIdEliEEvT3_S3_T2_PKT1_PKS4_PKS3_SB_21rocsparse_index_base_22rocsparse_matrix_type_20rocsparse_fill_mode_23rocsparse_storage_mode_P22rocsparse_data_status_: ; @_ZN9rocsparseL23check_matrix_csr_deviceILj256ELj128E21rocsparse_complex_numIdEliEEvT3_S3_T2_PKT1_PKS4_PKS3_SB_21rocsparse_index_base_22rocsparse_matrix_type_20rocsparse_fill_mode_23rocsparse_storage_mode_P22rocsparse_data_status_
; %bb.0:
	s_bfe_u32 s2, ttmp6, 0x4000c
	s_load_b64 s[12:13], s[0:1], 0x0
	s_add_co_i32 s2, s2, 1
	s_and_b32 s3, ttmp6, 15
	s_mul_i32 s2, ttmp9, s2
	s_getreg_b32 s4, hwreg(HW_REG_IB_STS2, 6, 4)
	s_add_co_i32 s3, s3, s2
	s_cmp_eq_u32 s4, 0
	s_cselect_b32 s2, ttmp9, s3
	s_delay_alu instid0(SALU_CYCLE_1) | instskip(SKIP_1) | instid1(VALU_DEP_1)
	v_lshl_or_b32 v1, s2, 8, v0
	s_mov_b32 s2, exec_lo
	v_lshrrev_b32_e32 v16, 7, v1
	s_wait_kmcnt 0x0
	s_delay_alu instid0(VALU_DEP_1)
	v_cmpx_gt_i32_e64 s12, v16
	s_cbranch_execz .LBB58_31
; %bb.1:
	s_load_b64 s[2:3], s[0:1], 0x18
	v_dual_lshlrev_b32 v1, 3, v16 :: v_dual_mov_b32 v17, 3
	s_wait_kmcnt 0x0
	global_load_b128 v[8:11], v1, s[2:3]
	s_wait_xcnt 0x0
	s_load_b64 s[2:3], s[2:3], 0x0
	s_wait_loadcnt 0x0
	s_wait_kmcnt 0x0
	v_sub_nc_u64_e64 v[4:5], v[10:11], s[2:3]
	v_sub_nc_u64_e64 v[6:7], v[8:9], s[2:3]
	v_cmp_lt_i64_e64 s2, v[10:11], v[8:9]
	s_delay_alu instid0(VALU_DEP_3) | instskip(NEXT) | instid1(VALU_DEP_3)
	v_cmp_gt_i64_e32 vcc_lo, 0, v[4:5]
	v_cmp_lt_i64_e64 s3, -1, v[6:7]
	s_or_b32 s2, vcc_lo, s2
	s_delay_alu instid0(SALU_CYCLE_1) | instskip(SKIP_2) | instid1(SALU_CYCLE_1)
	s_xor_b32 s4, s2, -1
	s_mov_b32 s2, -1
	s_and_b32 s3, s3, s4
	s_and_saveexec_b32 s12, s3
	s_cbranch_execz .LBB58_29
; %bb.2:
	v_and_b32_e32 v0, 0x7f, v0
	v_dual_mov_b32 v1, 0 :: v_dual_mov_b32 v17, 3
	s_mov_b32 s2, 0
	s_mov_b32 s14, exec_lo
	s_delay_alu instid0(VALU_DEP_1) | instskip(NEXT) | instid1(VALU_DEP_1)
	v_add_nc_u64_e32 v[8:9], v[6:7], v[0:1]
	v_cmpx_lt_u64_e64 v[8:9], v[4:5]
	s_cbranch_execz .LBB58_28
; %bb.3:
	s_clause 0x1
	s_load_b256 s[4:11], s[0:1], 0x20
	s_load_b64 s[2:3], s[0:1], 0x10
	v_lshl_add_u64 v[0:1], v[8:9], 2, -4
	s_wait_kmcnt 0x0
	s_cmp_lg_u32 s9, 0
	v_lshl_add_u64 v[2:3], v[8:9], 4, s[2:3]
	s_delay_alu instid0(VALU_DEP_2)
	v_add_nc_u64_e32 v[10:11], s[6:7], v[0:1]
	v_add_nc_u64_e32 v[12:13], s[4:5], v[0:1]
	s_cselect_b32 s9, -1, 0
	s_cmp_lg_u32 s10, 0
	v_add_nc_u64_e32 v[14:15], 8, v[2:3]
	s_cselect_b32 s4, -1, 0
	s_cmp_lg_u32 s11, 0
	s_mov_b32 s5, 0
	s_cselect_b32 s6, -1, 0
                                        ; implicit-def: $sgpr7
                                        ; implicit-def: $sgpr10
                                        ; implicit-def: $sgpr11
	s_branch .LBB58_10
.LBB58_4:                               ;   in Loop: Header=BB58_10 Depth=1
	s_or_b32 exec_lo, exec_lo, s3
	s_delay_alu instid0(SALU_CYCLE_1)
	s_or_not1_b32 s22, s2, exec_lo
	s_or_not1_b32 s2, s19, exec_lo
.LBB58_5:                               ;   in Loop: Header=BB58_10 Depth=1
	s_or_b32 exec_lo, exec_lo, s20
	s_delay_alu instid0(SALU_CYCLE_1)
	s_or_not1_b32 s3, s22, exec_lo
	s_or_not1_b32 s2, s2, exec_lo
.LBB58_6:                               ;   in Loop: Header=BB58_10 Depth=1
	s_or_b32 exec_lo, exec_lo, s18
	s_delay_alu instid0(SALU_CYCLE_1)
	s_or_not1_b32 s18, s3, exec_lo
	s_or_not1_b32 s3, s2, exec_lo
.LBB58_7:                               ;   in Loop: Header=BB58_10 Depth=1
	s_or_b32 exec_lo, exec_lo, s17
	s_delay_alu instid0(SALU_CYCLE_1)
	s_or_not1_b32 s17, s18, exec_lo
	s_or_not1_b32 s2, s3, exec_lo
.LBB58_8:                               ;   in Loop: Header=BB58_10 Depth=1
	s_or_b32 exec_lo, exec_lo, s16
	s_delay_alu instid0(SALU_CYCLE_1)
	s_and_not1_b32 s3, s11, exec_lo
	s_and_b32 s11, s17, exec_lo
	s_and_not1_b32 s10, s10, exec_lo
	s_and_b32 s2, s2, exec_lo
	s_or_b32 s11, s3, s11
	s_or_b32 s10, s10, s2
.LBB58_9:                               ;   in Loop: Header=BB58_10 Depth=1
	s_or_b32 exec_lo, exec_lo, s15
	s_delay_alu instid0(SALU_CYCLE_1) | instskip(NEXT) | instid1(SALU_CYCLE_1)
	s_and_b32 s2, exec_lo, s10
	s_or_b32 s5, s2, s5
	s_and_not1_b32 s2, s7, exec_lo
	s_and_b32 s3, s11, exec_lo
	s_delay_alu instid0(SALU_CYCLE_1)
	s_or_b32 s7, s2, s3
	s_and_not1_b32 exec_lo, exec_lo, s5
	s_cbranch_execz .LBB58_27
.LBB58_10:                              ; =>This Inner Loop Header: Depth=1
	global_load_b32 v18, v[12:13], off offset:4
	v_mov_b32_e32 v17, 4
	s_or_b32 s11, s11, exec_lo
	s_or_b32 s10, s10, exec_lo
	s_wait_loadcnt 0x0
	v_subrev_nc_u32_e32 v19, s8, v18
	s_delay_alu instid0(VALU_DEP_1) | instskip(SKIP_2) | instid1(SALU_CYCLE_1)
	v_cmp_lt_i32_e32 vcc_lo, -1, v19
	v_cmp_gt_i32_e64 s2, s13, v19
	s_and_b32 s2, vcc_lo, s2
	s_and_saveexec_b32 s15, s2
	s_cbranch_execz .LBB58_9
; %bb.11:                               ;   in Loop: Header=BB58_10 Depth=1
	v_cmp_le_i64_e64 s19, v[8:9], v[6:7]
	v_mov_b32_e32 v17, 4
	s_mov_b32 s16, exec_lo
	s_mov_b32 s3, s19
	v_cmpx_gt_i64_e64 v[8:9], v[6:7]
	s_cbranch_execz .LBB58_13
; %bb.12:                               ;   in Loop: Header=BB58_10 Depth=1
	global_load_b64 v[0:1], v[10:11], off
	v_mov_b32_e32 v17, 5
	s_wait_loadcnt 0x0
	v_subrev_nc_u32_e32 v2, s8, v0
	v_cmp_ne_u32_e64 s3, v1, v0
	s_delay_alu instid0(VALU_DEP_2) | instskip(SKIP_2) | instid1(SALU_CYCLE_1)
	v_cmp_lt_i32_e32 vcc_lo, -1, v2
	v_cmp_gt_i32_e64 s2, s13, v2
	s_and_b32 s2, vcc_lo, s2
	s_xor_b32 s2, s2, -1
	s_delay_alu instid0(SALU_CYCLE_1) | instskip(SKIP_2) | instid1(SALU_CYCLE_1)
	s_or_b32 s2, s3, s2
	s_and_not1_b32 s3, s19, exec_lo
	s_and_b32 s2, s2, exec_lo
	s_or_b32 s3, s3, s2
.LBB58_13:                              ;   in Loop: Header=BB58_10 Depth=1
	s_or_b32 exec_lo, exec_lo, s16
	s_mov_b32 s2, -1
	s_mov_b32 s17, -1
	s_and_saveexec_b32 s16, s3
	s_cbranch_execz .LBB58_8
; %bb.14:                               ;   in Loop: Header=BB58_10 Depth=1
	global_load_b128 v[0:3], v[14:15], off offset:-8
	v_mov_b32_e32 v17, 1
	s_mov_b32 s3, -1
	s_mov_b32 s18, -1
	s_wait_loadcnt 0x0
	v_cmp_neq_f64_e32 vcc_lo, 0x7ff00000, v[0:1]
	v_cmp_neq_f64_e64 s2, 0x7ff00000, v[2:3]
	s_and_b32 s2, vcc_lo, s2
	s_delay_alu instid0(SALU_CYCLE_1)
	s_and_saveexec_b32 s17, s2
	s_cbranch_execz .LBB58_7
; %bb.15:                               ;   in Loop: Header=BB58_10 Depth=1
	v_mov_b32_e32 v17, 2
	s_mov_b32 s2, -1
	s_mov_b32 s18, exec_lo
	v_cmpx_o_f64_e32 v[0:1], v[2:3]
	s_cbranch_execz .LBB58_6
; %bb.16:                               ;   in Loop: Header=BB58_10 Depth=1
	s_and_b32 vcc_lo, exec_lo, s9
	s_cbranch_vccz .LBB58_19
; %bb.17:                               ;   in Loop: Header=BB58_10 Depth=1
	s_and_b32 vcc_lo, exec_lo, s4
	s_cbranch_vccz .LBB58_20
; %bb.18:                               ;   in Loop: Header=BB58_10 Depth=1
	v_cmp_le_i32_e32 vcc_lo, v16, v19
	s_mov_b32 s3, 7
	s_and_b32 s21, vcc_lo, exec_lo
	s_cbranch_execz .LBB58_21
	s_branch .LBB58_22
.LBB58_19:                              ;   in Loop: Header=BB58_10 Depth=1
	s_mov_b32 s3, 2
	s_mov_b32 s21, -1
	s_branch .LBB58_22
.LBB58_20:                              ;   in Loop: Header=BB58_10 Depth=1
	s_mov_b32 s21, 0
	s_mov_b32 s3, 2
.LBB58_21:                              ;   in Loop: Header=BB58_10 Depth=1
	v_cmp_ge_i32_e32 vcc_lo, v16, v19
	s_and_not1_b32 s20, s21, exec_lo
	s_mov_b32 s3, 7
	s_and_b32 s21, vcc_lo, exec_lo
	s_delay_alu instid0(SALU_CYCLE_1)
	s_or_b32 s21, s20, s21
.LBB58_22:                              ;   in Loop: Header=BB58_10 Depth=1
	v_mov_b32_e32 v17, s3
	s_mov_b32 s22, -1
	s_and_saveexec_b32 s20, s21
	s_cbranch_execz .LBB58_5
; %bb.23:                               ;   in Loop: Header=BB58_10 Depth=1
	v_mov_b32_e32 v17, s3
	s_nor_b32 s2, s6, s19
	s_mov_b32 s19, -1
	s_and_saveexec_b32 s21, s2
	s_cbranch_execz .LBB58_25
; %bb.24:                               ;   in Loop: Header=BB58_10 Depth=1
	global_load_b32 v0, v[12:13], off
	v_mov_b32_e32 v17, 6
	s_wait_loadcnt 0x0
	v_subrev_nc_u32_e32 v1, s8, v0
	v_cmp_gt_i32_e64 s3, v18, v0
	s_delay_alu instid0(VALU_DEP_2) | instskip(SKIP_2) | instid1(SALU_CYCLE_1)
	v_cmp_lt_i32_e32 vcc_lo, -1, v1
	v_cmp_gt_i32_e64 s2, s13, v1
	s_and_b32 s2, vcc_lo, s2
	s_xor_b32 s2, s2, -1
	s_delay_alu instid0(SALU_CYCLE_1) | instskip(NEXT) | instid1(SALU_CYCLE_1)
	s_or_b32 s2, s3, s2
	s_or_not1_b32 s22, s2, exec_lo
.LBB58_25:                              ;   in Loop: Header=BB58_10 Depth=1
	s_or_b32 exec_lo, exec_lo, s21
	s_mov_b32 s2, -1
	s_and_saveexec_b32 s3, s22
	s_cbranch_execz .LBB58_4
; %bb.26:                               ;   in Loop: Header=BB58_10 Depth=1
	v_add_nc_u64_e32 v[8:9], 0x80, v[8:9]
	v_add_nc_u64_e32 v[10:11], 0x200, v[10:11]
	;; [unrolled: 1-line block ×4, first 2 shown]
	s_xor_b32 s2, exec_lo, -1
	s_delay_alu instid0(VALU_DEP_4)
	v_cmp_ge_i64_e32 vcc_lo, v[8:9], v[4:5]
	s_or_not1_b32 s19, vcc_lo, exec_lo
	s_branch .LBB58_4
.LBB58_27:
	s_or_b32 exec_lo, exec_lo, s5
	s_delay_alu instid0(SALU_CYCLE_1)
	s_and_b32 s2, s7, exec_lo
.LBB58_28:
	s_or_b32 exec_lo, exec_lo, s14
	s_delay_alu instid0(SALU_CYCLE_1)
	s_or_not1_b32 s2, s2, exec_lo
.LBB58_29:
	s_or_b32 exec_lo, exec_lo, s12
	s_delay_alu instid0(SALU_CYCLE_1)
	s_and_b32 exec_lo, exec_lo, s2
	s_cbranch_execz .LBB58_31
; %bb.30:
	s_load_b64 s[0:1], s[0:1], 0x40
	v_mov_b32_e32 v0, 0
	s_wait_kmcnt 0x0
	global_store_b32 v0, v17, s[0:1]
.LBB58_31:
	s_endpgm
	.section	.rodata,"a",@progbits
	.p2align	6, 0x0
	.amdhsa_kernel _ZN9rocsparseL23check_matrix_csr_deviceILj256ELj128E21rocsparse_complex_numIdEliEEvT3_S3_T2_PKT1_PKS4_PKS3_SB_21rocsparse_index_base_22rocsparse_matrix_type_20rocsparse_fill_mode_23rocsparse_storage_mode_P22rocsparse_data_status_
		.amdhsa_group_segment_fixed_size 0
		.amdhsa_private_segment_fixed_size 0
		.amdhsa_kernarg_size 72
		.amdhsa_user_sgpr_count 2
		.amdhsa_user_sgpr_dispatch_ptr 0
		.amdhsa_user_sgpr_queue_ptr 0
		.amdhsa_user_sgpr_kernarg_segment_ptr 1
		.amdhsa_user_sgpr_dispatch_id 0
		.amdhsa_user_sgpr_kernarg_preload_length 0
		.amdhsa_user_sgpr_kernarg_preload_offset 0
		.amdhsa_user_sgpr_private_segment_size 0
		.amdhsa_wavefront_size32 1
		.amdhsa_uses_dynamic_stack 0
		.amdhsa_enable_private_segment 0
		.amdhsa_system_sgpr_workgroup_id_x 1
		.amdhsa_system_sgpr_workgroup_id_y 0
		.amdhsa_system_sgpr_workgroup_id_z 0
		.amdhsa_system_sgpr_workgroup_info 0
		.amdhsa_system_vgpr_workitem_id 0
		.amdhsa_next_free_vgpr 20
		.amdhsa_next_free_sgpr 23
		.amdhsa_named_barrier_count 0
		.amdhsa_reserve_vcc 1
		.amdhsa_float_round_mode_32 0
		.amdhsa_float_round_mode_16_64 0
		.amdhsa_float_denorm_mode_32 3
		.amdhsa_float_denorm_mode_16_64 3
		.amdhsa_fp16_overflow 0
		.amdhsa_memory_ordered 1
		.amdhsa_forward_progress 1
		.amdhsa_inst_pref_size 9
		.amdhsa_round_robin_scheduling 0
		.amdhsa_exception_fp_ieee_invalid_op 0
		.amdhsa_exception_fp_denorm_src 0
		.amdhsa_exception_fp_ieee_div_zero 0
		.amdhsa_exception_fp_ieee_overflow 0
		.amdhsa_exception_fp_ieee_underflow 0
		.amdhsa_exception_fp_ieee_inexact 0
		.amdhsa_exception_int_div_zero 0
	.end_amdhsa_kernel
	.section	.text._ZN9rocsparseL23check_matrix_csr_deviceILj256ELj128E21rocsparse_complex_numIdEliEEvT3_S3_T2_PKT1_PKS4_PKS3_SB_21rocsparse_index_base_22rocsparse_matrix_type_20rocsparse_fill_mode_23rocsparse_storage_mode_P22rocsparse_data_status_,"axG",@progbits,_ZN9rocsparseL23check_matrix_csr_deviceILj256ELj128E21rocsparse_complex_numIdEliEEvT3_S3_T2_PKT1_PKS4_PKS3_SB_21rocsparse_index_base_22rocsparse_matrix_type_20rocsparse_fill_mode_23rocsparse_storage_mode_P22rocsparse_data_status_,comdat
.Lfunc_end58:
	.size	_ZN9rocsparseL23check_matrix_csr_deviceILj256ELj128E21rocsparse_complex_numIdEliEEvT3_S3_T2_PKT1_PKS4_PKS3_SB_21rocsparse_index_base_22rocsparse_matrix_type_20rocsparse_fill_mode_23rocsparse_storage_mode_P22rocsparse_data_status_, .Lfunc_end58-_ZN9rocsparseL23check_matrix_csr_deviceILj256ELj128E21rocsparse_complex_numIdEliEEvT3_S3_T2_PKT1_PKS4_PKS3_SB_21rocsparse_index_base_22rocsparse_matrix_type_20rocsparse_fill_mode_23rocsparse_storage_mode_P22rocsparse_data_status_
                                        ; -- End function
	.set _ZN9rocsparseL23check_matrix_csr_deviceILj256ELj128E21rocsparse_complex_numIdEliEEvT3_S3_T2_PKT1_PKS4_PKS3_SB_21rocsparse_index_base_22rocsparse_matrix_type_20rocsparse_fill_mode_23rocsparse_storage_mode_P22rocsparse_data_status_.num_vgpr, 20
	.set _ZN9rocsparseL23check_matrix_csr_deviceILj256ELj128E21rocsparse_complex_numIdEliEEvT3_S3_T2_PKT1_PKS4_PKS3_SB_21rocsparse_index_base_22rocsparse_matrix_type_20rocsparse_fill_mode_23rocsparse_storage_mode_P22rocsparse_data_status_.num_agpr, 0
	.set _ZN9rocsparseL23check_matrix_csr_deviceILj256ELj128E21rocsparse_complex_numIdEliEEvT3_S3_T2_PKT1_PKS4_PKS3_SB_21rocsparse_index_base_22rocsparse_matrix_type_20rocsparse_fill_mode_23rocsparse_storage_mode_P22rocsparse_data_status_.numbered_sgpr, 23
	.set _ZN9rocsparseL23check_matrix_csr_deviceILj256ELj128E21rocsparse_complex_numIdEliEEvT3_S3_T2_PKT1_PKS4_PKS3_SB_21rocsparse_index_base_22rocsparse_matrix_type_20rocsparse_fill_mode_23rocsparse_storage_mode_P22rocsparse_data_status_.num_named_barrier, 0
	.set _ZN9rocsparseL23check_matrix_csr_deviceILj256ELj128E21rocsparse_complex_numIdEliEEvT3_S3_T2_PKT1_PKS4_PKS3_SB_21rocsparse_index_base_22rocsparse_matrix_type_20rocsparse_fill_mode_23rocsparse_storage_mode_P22rocsparse_data_status_.private_seg_size, 0
	.set _ZN9rocsparseL23check_matrix_csr_deviceILj256ELj128E21rocsparse_complex_numIdEliEEvT3_S3_T2_PKT1_PKS4_PKS3_SB_21rocsparse_index_base_22rocsparse_matrix_type_20rocsparse_fill_mode_23rocsparse_storage_mode_P22rocsparse_data_status_.uses_vcc, 1
	.set _ZN9rocsparseL23check_matrix_csr_deviceILj256ELj128E21rocsparse_complex_numIdEliEEvT3_S3_T2_PKT1_PKS4_PKS3_SB_21rocsparse_index_base_22rocsparse_matrix_type_20rocsparse_fill_mode_23rocsparse_storage_mode_P22rocsparse_data_status_.uses_flat_scratch, 0
	.set _ZN9rocsparseL23check_matrix_csr_deviceILj256ELj128E21rocsparse_complex_numIdEliEEvT3_S3_T2_PKT1_PKS4_PKS3_SB_21rocsparse_index_base_22rocsparse_matrix_type_20rocsparse_fill_mode_23rocsparse_storage_mode_P22rocsparse_data_status_.has_dyn_sized_stack, 0
	.set _ZN9rocsparseL23check_matrix_csr_deviceILj256ELj128E21rocsparse_complex_numIdEliEEvT3_S3_T2_PKT1_PKS4_PKS3_SB_21rocsparse_index_base_22rocsparse_matrix_type_20rocsparse_fill_mode_23rocsparse_storage_mode_P22rocsparse_data_status_.has_recursion, 0
	.set _ZN9rocsparseL23check_matrix_csr_deviceILj256ELj128E21rocsparse_complex_numIdEliEEvT3_S3_T2_PKT1_PKS4_PKS3_SB_21rocsparse_index_base_22rocsparse_matrix_type_20rocsparse_fill_mode_23rocsparse_storage_mode_P22rocsparse_data_status_.has_indirect_call, 0
	.section	.AMDGPU.csdata,"",@progbits
; Kernel info:
; codeLenInByte = 1076
; TotalNumSgprs: 25
; NumVgprs: 20
; ScratchSize: 0
; MemoryBound: 0
; FloatMode: 240
; IeeeMode: 1
; LDSByteSize: 0 bytes/workgroup (compile time only)
; SGPRBlocks: 0
; VGPRBlocks: 1
; NumSGPRsForWavesPerEU: 25
; NumVGPRsForWavesPerEU: 20
; NamedBarCnt: 0
; Occupancy: 16
; WaveLimiterHint : 0
; COMPUTE_PGM_RSRC2:SCRATCH_EN: 0
; COMPUTE_PGM_RSRC2:USER_SGPR: 2
; COMPUTE_PGM_RSRC2:TRAP_HANDLER: 0
; COMPUTE_PGM_RSRC2:TGID_X_EN: 1
; COMPUTE_PGM_RSRC2:TGID_Y_EN: 0
; COMPUTE_PGM_RSRC2:TGID_Z_EN: 0
; COMPUTE_PGM_RSRC2:TIDIG_COMP_CNT: 0
	.section	.text._ZN9rocsparseL23check_matrix_csr_deviceILj256ELj256E21rocsparse_complex_numIdEliEEvT3_S3_T2_PKT1_PKS4_PKS3_SB_21rocsparse_index_base_22rocsparse_matrix_type_20rocsparse_fill_mode_23rocsparse_storage_mode_P22rocsparse_data_status_,"axG",@progbits,_ZN9rocsparseL23check_matrix_csr_deviceILj256ELj256E21rocsparse_complex_numIdEliEEvT3_S3_T2_PKT1_PKS4_PKS3_SB_21rocsparse_index_base_22rocsparse_matrix_type_20rocsparse_fill_mode_23rocsparse_storage_mode_P22rocsparse_data_status_,comdat
	.globl	_ZN9rocsparseL23check_matrix_csr_deviceILj256ELj256E21rocsparse_complex_numIdEliEEvT3_S3_T2_PKT1_PKS4_PKS3_SB_21rocsparse_index_base_22rocsparse_matrix_type_20rocsparse_fill_mode_23rocsparse_storage_mode_P22rocsparse_data_status_ ; -- Begin function _ZN9rocsparseL23check_matrix_csr_deviceILj256ELj256E21rocsparse_complex_numIdEliEEvT3_S3_T2_PKT1_PKS4_PKS3_SB_21rocsparse_index_base_22rocsparse_matrix_type_20rocsparse_fill_mode_23rocsparse_storage_mode_P22rocsparse_data_status_
	.p2align	8
	.type	_ZN9rocsparseL23check_matrix_csr_deviceILj256ELj256E21rocsparse_complex_numIdEliEEvT3_S3_T2_PKT1_PKS4_PKS3_SB_21rocsparse_index_base_22rocsparse_matrix_type_20rocsparse_fill_mode_23rocsparse_storage_mode_P22rocsparse_data_status_,@function
_ZN9rocsparseL23check_matrix_csr_deviceILj256ELj256E21rocsparse_complex_numIdEliEEvT3_S3_T2_PKT1_PKS4_PKS3_SB_21rocsparse_index_base_22rocsparse_matrix_type_20rocsparse_fill_mode_23rocsparse_storage_mode_P22rocsparse_data_status_: ; @_ZN9rocsparseL23check_matrix_csr_deviceILj256ELj256E21rocsparse_complex_numIdEliEEvT3_S3_T2_PKT1_PKS4_PKS3_SB_21rocsparse_index_base_22rocsparse_matrix_type_20rocsparse_fill_mode_23rocsparse_storage_mode_P22rocsparse_data_status_
; %bb.0:
	s_load_b64 s[12:13], s[0:1], 0x0
	s_bfe_u32 s2, ttmp6, 0x4000c
	s_and_b32 s3, ttmp6, 15
	s_add_co_i32 s2, s2, 1
	s_getreg_b32 s4, hwreg(HW_REG_IB_STS2, 6, 4)
	s_mul_i32 s2, ttmp9, s2
	s_delay_alu instid0(SALU_CYCLE_1) | instskip(SKIP_2) | instid1(SALU_CYCLE_1)
	s_add_co_i32 s3, s3, s2
	s_cmp_eq_u32 s4, 0
	s_cselect_b32 s2, ttmp9, s3
	s_and_b32 s14, s2, 0xffffff
	s_wait_kmcnt 0x0
	s_cmp_lt_i32 s14, s12
	s_cselect_b32 s2, -1, 0
	s_delay_alu instid0(SALU_CYCLE_1)
	s_and_saveexec_b32 s3, s2
	s_cbranch_execz .LBB59_31
; %bb.1:
	s_load_b64 s[2:3], s[0:1], 0x18
	v_lshlrev_b32_e64 v1, 3, s14
	v_mov_b32_e32 v16, 3
	s_wait_kmcnt 0x0
	global_load_b128 v[8:11], v1, s[2:3]
	s_wait_xcnt 0x0
	s_load_b64 s[2:3], s[2:3], 0x0
	s_wait_loadcnt 0x0
	s_wait_kmcnt 0x0
	v_sub_nc_u64_e64 v[4:5], v[10:11], s[2:3]
	v_sub_nc_u64_e64 v[6:7], v[8:9], s[2:3]
	v_cmp_lt_i64_e64 s2, v[10:11], v[8:9]
	s_delay_alu instid0(VALU_DEP_3) | instskip(NEXT) | instid1(VALU_DEP_3)
	v_cmp_gt_i64_e32 vcc_lo, 0, v[4:5]
	v_cmp_lt_i64_e64 s3, -1, v[6:7]
	s_or_b32 s2, vcc_lo, s2
	s_delay_alu instid0(SALU_CYCLE_1) | instskip(SKIP_2) | instid1(SALU_CYCLE_1)
	s_xor_b32 s4, s2, -1
	s_mov_b32 s2, -1
	s_and_b32 s3, s3, s4
	s_and_saveexec_b32 s12, s3
	s_cbranch_execz .LBB59_29
; %bb.2:
	v_dual_mov_b32 v1, 0 :: v_dual_mov_b32 v16, 3
	s_mov_b32 s2, 0
	s_mov_b32 s15, exec_lo
	s_delay_alu instid0(VALU_DEP_1) | instskip(NEXT) | instid1(VALU_DEP_1)
	v_add_nc_u64_e32 v[8:9], v[6:7], v[0:1]
	v_cmpx_lt_u64_e64 v[8:9], v[4:5]
	s_cbranch_execz .LBB59_28
; %bb.3:
	s_clause 0x1
	s_load_b256 s[4:11], s[0:1], 0x20
	s_load_b64 s[2:3], s[0:1], 0x10
	v_lshl_add_u64 v[0:1], v[8:9], 2, -4
	s_wait_kmcnt 0x0
	s_cmp_lg_u32 s9, 0
	v_lshl_add_u64 v[2:3], v[8:9], 4, s[2:3]
	s_delay_alu instid0(VALU_DEP_2)
	v_add_nc_u64_e32 v[10:11], s[6:7], v[0:1]
	v_add_nc_u64_e32 v[12:13], s[4:5], v[0:1]
	s_cselect_b32 s9, -1, 0
	s_cmp_lg_u32 s10, 0
	v_add_nc_u64_e32 v[14:15], 8, v[2:3]
	s_cselect_b32 s4, -1, 0
	s_cmp_lg_u32 s11, 0
	s_mov_b32 s5, 0
	s_cselect_b32 s6, -1, 0
                                        ; implicit-def: $sgpr7
                                        ; implicit-def: $sgpr10
                                        ; implicit-def: $sgpr11
	s_branch .LBB59_10
.LBB59_4:                               ;   in Loop: Header=BB59_10 Depth=1
	s_or_b32 exec_lo, exec_lo, s3
	s_delay_alu instid0(SALU_CYCLE_1)
	s_or_not1_b32 s23, s2, exec_lo
	s_or_not1_b32 s2, s20, exec_lo
.LBB59_5:                               ;   in Loop: Header=BB59_10 Depth=1
	s_or_b32 exec_lo, exec_lo, s21
	s_delay_alu instid0(SALU_CYCLE_1)
	s_or_not1_b32 s3, s23, exec_lo
	s_or_not1_b32 s2, s2, exec_lo
.LBB59_6:                               ;   in Loop: Header=BB59_10 Depth=1
	s_or_b32 exec_lo, exec_lo, s19
	s_delay_alu instid0(SALU_CYCLE_1)
	s_or_not1_b32 s19, s3, exec_lo
	s_or_not1_b32 s3, s2, exec_lo
.LBB59_7:                               ;   in Loop: Header=BB59_10 Depth=1
	s_or_b32 exec_lo, exec_lo, s18
	s_delay_alu instid0(SALU_CYCLE_1)
	s_or_not1_b32 s18, s19, exec_lo
	s_or_not1_b32 s2, s3, exec_lo
.LBB59_8:                               ;   in Loop: Header=BB59_10 Depth=1
	s_or_b32 exec_lo, exec_lo, s17
	s_delay_alu instid0(SALU_CYCLE_1)
	s_and_not1_b32 s3, s11, exec_lo
	s_and_b32 s11, s18, exec_lo
	s_and_not1_b32 s10, s10, exec_lo
	s_and_b32 s2, s2, exec_lo
	s_or_b32 s11, s3, s11
	s_or_b32 s10, s10, s2
.LBB59_9:                               ;   in Loop: Header=BB59_10 Depth=1
	s_or_b32 exec_lo, exec_lo, s16
	s_delay_alu instid0(SALU_CYCLE_1) | instskip(NEXT) | instid1(SALU_CYCLE_1)
	s_and_b32 s2, exec_lo, s10
	s_or_b32 s5, s2, s5
	s_and_not1_b32 s2, s7, exec_lo
	s_and_b32 s3, s11, exec_lo
	s_delay_alu instid0(SALU_CYCLE_1)
	s_or_b32 s7, s2, s3
	s_and_not1_b32 exec_lo, exec_lo, s5
	s_cbranch_execz .LBB59_27
.LBB59_10:                              ; =>This Inner Loop Header: Depth=1
	global_load_b32 v17, v[12:13], off offset:4
	v_mov_b32_e32 v16, 4
	s_or_b32 s11, s11, exec_lo
	s_or_b32 s10, s10, exec_lo
	s_wait_loadcnt 0x0
	v_subrev_nc_u32_e32 v18, s8, v17
	s_delay_alu instid0(VALU_DEP_1) | instskip(SKIP_2) | instid1(SALU_CYCLE_1)
	v_cmp_lt_i32_e32 vcc_lo, -1, v18
	v_cmp_gt_i32_e64 s2, s13, v18
	s_and_b32 s2, vcc_lo, s2
	s_and_saveexec_b32 s16, s2
	s_cbranch_execz .LBB59_9
; %bb.11:                               ;   in Loop: Header=BB59_10 Depth=1
	v_cmp_le_i64_e64 s20, v[8:9], v[6:7]
	v_mov_b32_e32 v16, 4
	s_mov_b32 s17, exec_lo
	s_mov_b32 s3, s20
	v_cmpx_gt_i64_e64 v[8:9], v[6:7]
	s_cbranch_execz .LBB59_13
; %bb.12:                               ;   in Loop: Header=BB59_10 Depth=1
	global_load_b64 v[0:1], v[10:11], off
	v_mov_b32_e32 v16, 5
	s_wait_loadcnt 0x0
	v_subrev_nc_u32_e32 v2, s8, v0
	v_cmp_ne_u32_e64 s3, v1, v0
	s_delay_alu instid0(VALU_DEP_2) | instskip(SKIP_2) | instid1(SALU_CYCLE_1)
	v_cmp_lt_i32_e32 vcc_lo, -1, v2
	v_cmp_gt_i32_e64 s2, s13, v2
	s_and_b32 s2, vcc_lo, s2
	s_xor_b32 s2, s2, -1
	s_delay_alu instid0(SALU_CYCLE_1) | instskip(SKIP_2) | instid1(SALU_CYCLE_1)
	s_or_b32 s2, s3, s2
	s_and_not1_b32 s3, s20, exec_lo
	s_and_b32 s2, s2, exec_lo
	s_or_b32 s3, s3, s2
.LBB59_13:                              ;   in Loop: Header=BB59_10 Depth=1
	s_or_b32 exec_lo, exec_lo, s17
	s_mov_b32 s2, -1
	s_mov_b32 s18, -1
	s_and_saveexec_b32 s17, s3
	s_cbranch_execz .LBB59_8
; %bb.14:                               ;   in Loop: Header=BB59_10 Depth=1
	global_load_b128 v[0:3], v[14:15], off offset:-8
	v_mov_b32_e32 v16, 1
	s_mov_b32 s3, -1
	s_mov_b32 s19, -1
	s_wait_loadcnt 0x0
	v_cmp_neq_f64_e32 vcc_lo, 0x7ff00000, v[0:1]
	v_cmp_neq_f64_e64 s2, 0x7ff00000, v[2:3]
	s_and_b32 s2, vcc_lo, s2
	s_delay_alu instid0(SALU_CYCLE_1)
	s_and_saveexec_b32 s18, s2
	s_cbranch_execz .LBB59_7
; %bb.15:                               ;   in Loop: Header=BB59_10 Depth=1
	v_mov_b32_e32 v16, 2
	s_mov_b32 s2, -1
	s_mov_b32 s19, exec_lo
	v_cmpx_o_f64_e32 v[0:1], v[2:3]
	s_cbranch_execz .LBB59_6
; %bb.16:                               ;   in Loop: Header=BB59_10 Depth=1
	s_and_b32 vcc_lo, exec_lo, s9
	s_cbranch_vccz .LBB59_19
; %bb.17:                               ;   in Loop: Header=BB59_10 Depth=1
	s_and_b32 vcc_lo, exec_lo, s4
	s_cbranch_vccz .LBB59_20
; %bb.18:                               ;   in Loop: Header=BB59_10 Depth=1
	v_cmp_le_i32_e32 vcc_lo, s14, v18
	s_mov_b32 s3, 7
	s_and_b32 s22, vcc_lo, exec_lo
	s_cbranch_execz .LBB59_21
	s_branch .LBB59_22
.LBB59_19:                              ;   in Loop: Header=BB59_10 Depth=1
	s_mov_b32 s3, 2
	s_mov_b32 s22, -1
	s_branch .LBB59_22
.LBB59_20:                              ;   in Loop: Header=BB59_10 Depth=1
	s_mov_b32 s22, 0
	s_mov_b32 s3, 2
.LBB59_21:                              ;   in Loop: Header=BB59_10 Depth=1
	v_cmp_ge_i32_e32 vcc_lo, s14, v18
	s_and_not1_b32 s21, s22, exec_lo
	s_mov_b32 s3, 7
	s_and_b32 s22, vcc_lo, exec_lo
	s_delay_alu instid0(SALU_CYCLE_1)
	s_or_b32 s22, s21, s22
.LBB59_22:                              ;   in Loop: Header=BB59_10 Depth=1
	v_mov_b32_e32 v16, s3
	s_mov_b32 s23, -1
	s_and_saveexec_b32 s21, s22
	s_cbranch_execz .LBB59_5
; %bb.23:                               ;   in Loop: Header=BB59_10 Depth=1
	v_mov_b32_e32 v16, s3
	s_nor_b32 s2, s6, s20
	s_mov_b32 s20, -1
	s_and_saveexec_b32 s22, s2
	s_cbranch_execz .LBB59_25
; %bb.24:                               ;   in Loop: Header=BB59_10 Depth=1
	global_load_b32 v0, v[12:13], off
	v_mov_b32_e32 v16, 6
	s_wait_loadcnt 0x0
	v_subrev_nc_u32_e32 v1, s8, v0
	v_cmp_gt_i32_e64 s3, v17, v0
	s_delay_alu instid0(VALU_DEP_2) | instskip(SKIP_2) | instid1(SALU_CYCLE_1)
	v_cmp_lt_i32_e32 vcc_lo, -1, v1
	v_cmp_gt_i32_e64 s2, s13, v1
	s_and_b32 s2, vcc_lo, s2
	s_xor_b32 s2, s2, -1
	s_delay_alu instid0(SALU_CYCLE_1) | instskip(NEXT) | instid1(SALU_CYCLE_1)
	s_or_b32 s2, s3, s2
	s_or_not1_b32 s23, s2, exec_lo
.LBB59_25:                              ;   in Loop: Header=BB59_10 Depth=1
	s_or_b32 exec_lo, exec_lo, s22
	s_mov_b32 s2, -1
	s_and_saveexec_b32 s3, s23
	s_cbranch_execz .LBB59_4
; %bb.26:                               ;   in Loop: Header=BB59_10 Depth=1
	v_add_nc_u64_e32 v[8:9], 0x100, v[8:9]
	v_add_nc_u64_e32 v[10:11], 0x400, v[10:11]
	;; [unrolled: 1-line block ×4, first 2 shown]
	s_xor_b32 s2, exec_lo, -1
	s_delay_alu instid0(VALU_DEP_4)
	v_cmp_ge_i64_e32 vcc_lo, v[8:9], v[4:5]
	s_or_not1_b32 s20, vcc_lo, exec_lo
	s_branch .LBB59_4
.LBB59_27:
	s_or_b32 exec_lo, exec_lo, s5
	s_delay_alu instid0(SALU_CYCLE_1)
	s_and_b32 s2, s7, exec_lo
.LBB59_28:
	s_or_b32 exec_lo, exec_lo, s15
	s_delay_alu instid0(SALU_CYCLE_1)
	s_or_not1_b32 s2, s2, exec_lo
.LBB59_29:
	s_or_b32 exec_lo, exec_lo, s12
	s_delay_alu instid0(SALU_CYCLE_1)
	s_and_b32 exec_lo, exec_lo, s2
	s_cbranch_execz .LBB59_31
; %bb.30:
	s_load_b64 s[0:1], s[0:1], 0x40
	v_mov_b32_e32 v0, 0
	s_wait_kmcnt 0x0
	global_store_b32 v0, v16, s[0:1]
.LBB59_31:
	s_endpgm
	.section	.rodata,"a",@progbits
	.p2align	6, 0x0
	.amdhsa_kernel _ZN9rocsparseL23check_matrix_csr_deviceILj256ELj256E21rocsparse_complex_numIdEliEEvT3_S3_T2_PKT1_PKS4_PKS3_SB_21rocsparse_index_base_22rocsparse_matrix_type_20rocsparse_fill_mode_23rocsparse_storage_mode_P22rocsparse_data_status_
		.amdhsa_group_segment_fixed_size 0
		.amdhsa_private_segment_fixed_size 0
		.amdhsa_kernarg_size 72
		.amdhsa_user_sgpr_count 2
		.amdhsa_user_sgpr_dispatch_ptr 0
		.amdhsa_user_sgpr_queue_ptr 0
		.amdhsa_user_sgpr_kernarg_segment_ptr 1
		.amdhsa_user_sgpr_dispatch_id 0
		.amdhsa_user_sgpr_kernarg_preload_length 0
		.amdhsa_user_sgpr_kernarg_preload_offset 0
		.amdhsa_user_sgpr_private_segment_size 0
		.amdhsa_wavefront_size32 1
		.amdhsa_uses_dynamic_stack 0
		.amdhsa_enable_private_segment 0
		.amdhsa_system_sgpr_workgroup_id_x 1
		.amdhsa_system_sgpr_workgroup_id_y 0
		.amdhsa_system_sgpr_workgroup_id_z 0
		.amdhsa_system_sgpr_workgroup_info 0
		.amdhsa_system_vgpr_workitem_id 0
		.amdhsa_next_free_vgpr 19
		.amdhsa_next_free_sgpr 24
		.amdhsa_named_barrier_count 0
		.amdhsa_reserve_vcc 1
		.amdhsa_float_round_mode_32 0
		.amdhsa_float_round_mode_16_64 0
		.amdhsa_float_denorm_mode_32 3
		.amdhsa_float_denorm_mode_16_64 3
		.amdhsa_fp16_overflow 0
		.amdhsa_memory_ordered 1
		.amdhsa_forward_progress 1
		.amdhsa_inst_pref_size 9
		.amdhsa_round_robin_scheduling 0
		.amdhsa_exception_fp_ieee_invalid_op 0
		.amdhsa_exception_fp_denorm_src 0
		.amdhsa_exception_fp_ieee_div_zero 0
		.amdhsa_exception_fp_ieee_overflow 0
		.amdhsa_exception_fp_ieee_underflow 0
		.amdhsa_exception_fp_ieee_inexact 0
		.amdhsa_exception_int_div_zero 0
	.end_amdhsa_kernel
	.section	.text._ZN9rocsparseL23check_matrix_csr_deviceILj256ELj256E21rocsparse_complex_numIdEliEEvT3_S3_T2_PKT1_PKS4_PKS3_SB_21rocsparse_index_base_22rocsparse_matrix_type_20rocsparse_fill_mode_23rocsparse_storage_mode_P22rocsparse_data_status_,"axG",@progbits,_ZN9rocsparseL23check_matrix_csr_deviceILj256ELj256E21rocsparse_complex_numIdEliEEvT3_S3_T2_PKT1_PKS4_PKS3_SB_21rocsparse_index_base_22rocsparse_matrix_type_20rocsparse_fill_mode_23rocsparse_storage_mode_P22rocsparse_data_status_,comdat
.Lfunc_end59:
	.size	_ZN9rocsparseL23check_matrix_csr_deviceILj256ELj256E21rocsparse_complex_numIdEliEEvT3_S3_T2_PKT1_PKS4_PKS3_SB_21rocsparse_index_base_22rocsparse_matrix_type_20rocsparse_fill_mode_23rocsparse_storage_mode_P22rocsparse_data_status_, .Lfunc_end59-_ZN9rocsparseL23check_matrix_csr_deviceILj256ELj256E21rocsparse_complex_numIdEliEEvT3_S3_T2_PKT1_PKS4_PKS3_SB_21rocsparse_index_base_22rocsparse_matrix_type_20rocsparse_fill_mode_23rocsparse_storage_mode_P22rocsparse_data_status_
                                        ; -- End function
	.set _ZN9rocsparseL23check_matrix_csr_deviceILj256ELj256E21rocsparse_complex_numIdEliEEvT3_S3_T2_PKT1_PKS4_PKS3_SB_21rocsparse_index_base_22rocsparse_matrix_type_20rocsparse_fill_mode_23rocsparse_storage_mode_P22rocsparse_data_status_.num_vgpr, 19
	.set _ZN9rocsparseL23check_matrix_csr_deviceILj256ELj256E21rocsparse_complex_numIdEliEEvT3_S3_T2_PKT1_PKS4_PKS3_SB_21rocsparse_index_base_22rocsparse_matrix_type_20rocsparse_fill_mode_23rocsparse_storage_mode_P22rocsparse_data_status_.num_agpr, 0
	.set _ZN9rocsparseL23check_matrix_csr_deviceILj256ELj256E21rocsparse_complex_numIdEliEEvT3_S3_T2_PKT1_PKS4_PKS3_SB_21rocsparse_index_base_22rocsparse_matrix_type_20rocsparse_fill_mode_23rocsparse_storage_mode_P22rocsparse_data_status_.numbered_sgpr, 24
	.set _ZN9rocsparseL23check_matrix_csr_deviceILj256ELj256E21rocsparse_complex_numIdEliEEvT3_S3_T2_PKT1_PKS4_PKS3_SB_21rocsparse_index_base_22rocsparse_matrix_type_20rocsparse_fill_mode_23rocsparse_storage_mode_P22rocsparse_data_status_.num_named_barrier, 0
	.set _ZN9rocsparseL23check_matrix_csr_deviceILj256ELj256E21rocsparse_complex_numIdEliEEvT3_S3_T2_PKT1_PKS4_PKS3_SB_21rocsparse_index_base_22rocsparse_matrix_type_20rocsparse_fill_mode_23rocsparse_storage_mode_P22rocsparse_data_status_.private_seg_size, 0
	.set _ZN9rocsparseL23check_matrix_csr_deviceILj256ELj256E21rocsparse_complex_numIdEliEEvT3_S3_T2_PKT1_PKS4_PKS3_SB_21rocsparse_index_base_22rocsparse_matrix_type_20rocsparse_fill_mode_23rocsparse_storage_mode_P22rocsparse_data_status_.uses_vcc, 1
	.set _ZN9rocsparseL23check_matrix_csr_deviceILj256ELj256E21rocsparse_complex_numIdEliEEvT3_S3_T2_PKT1_PKS4_PKS3_SB_21rocsparse_index_base_22rocsparse_matrix_type_20rocsparse_fill_mode_23rocsparse_storage_mode_P22rocsparse_data_status_.uses_flat_scratch, 0
	.set _ZN9rocsparseL23check_matrix_csr_deviceILj256ELj256E21rocsparse_complex_numIdEliEEvT3_S3_T2_PKT1_PKS4_PKS3_SB_21rocsparse_index_base_22rocsparse_matrix_type_20rocsparse_fill_mode_23rocsparse_storage_mode_P22rocsparse_data_status_.has_dyn_sized_stack, 0
	.set _ZN9rocsparseL23check_matrix_csr_deviceILj256ELj256E21rocsparse_complex_numIdEliEEvT3_S3_T2_PKT1_PKS4_PKS3_SB_21rocsparse_index_base_22rocsparse_matrix_type_20rocsparse_fill_mode_23rocsparse_storage_mode_P22rocsparse_data_status_.has_recursion, 0
	.set _ZN9rocsparseL23check_matrix_csr_deviceILj256ELj256E21rocsparse_complex_numIdEliEEvT3_S3_T2_PKT1_PKS4_PKS3_SB_21rocsparse_index_base_22rocsparse_matrix_type_20rocsparse_fill_mode_23rocsparse_storage_mode_P22rocsparse_data_status_.has_indirect_call, 0
	.section	.AMDGPU.csdata,"",@progbits
; Kernel info:
; codeLenInByte = 1060
; TotalNumSgprs: 26
; NumVgprs: 19
; ScratchSize: 0
; MemoryBound: 0
; FloatMode: 240
; IeeeMode: 1
; LDSByteSize: 0 bytes/workgroup (compile time only)
; SGPRBlocks: 0
; VGPRBlocks: 1
; NumSGPRsForWavesPerEU: 26
; NumVGPRsForWavesPerEU: 19
; NamedBarCnt: 0
; Occupancy: 16
; WaveLimiterHint : 0
; COMPUTE_PGM_RSRC2:SCRATCH_EN: 0
; COMPUTE_PGM_RSRC2:USER_SGPR: 2
; COMPUTE_PGM_RSRC2:TRAP_HANDLER: 0
; COMPUTE_PGM_RSRC2:TGID_X_EN: 1
; COMPUTE_PGM_RSRC2:TGID_Y_EN: 0
; COMPUTE_PGM_RSRC2:TGID_Z_EN: 0
; COMPUTE_PGM_RSRC2:TIDIG_COMP_CNT: 0
	.section	.text._ZN9rocsparseL19check_row_ptr_arrayILj256EllEEvT1_PKT0_P22rocsparse_data_status_,"axG",@progbits,_ZN9rocsparseL19check_row_ptr_arrayILj256EllEEvT1_PKT0_P22rocsparse_data_status_,comdat
	.globl	_ZN9rocsparseL19check_row_ptr_arrayILj256EllEEvT1_PKT0_P22rocsparse_data_status_ ; -- Begin function _ZN9rocsparseL19check_row_ptr_arrayILj256EllEEvT1_PKT0_P22rocsparse_data_status_
	.p2align	8
	.type	_ZN9rocsparseL19check_row_ptr_arrayILj256EllEEvT1_PKT0_P22rocsparse_data_status_,@function
_ZN9rocsparseL19check_row_ptr_arrayILj256EllEEvT1_PKT0_P22rocsparse_data_status_: ; @_ZN9rocsparseL19check_row_ptr_arrayILj256EllEEvT1_PKT0_P22rocsparse_data_status_
; %bb.0:
	s_load_b64 s[2:3], s[0:1], 0x0
	s_bfe_u32 s4, ttmp6, 0x4000c
	s_and_b32 s5, ttmp6, 15
	s_add_co_i32 s4, s4, 1
	s_getreg_b32 s6, hwreg(HW_REG_IB_STS2, 6, 4)
	s_mul_i32 s4, ttmp9, s4
	v_mov_b32_e32 v1, 0
	s_add_co_i32 s5, s5, s4
	s_cmp_eq_u32 s6, 0
	s_cselect_b32 s4, ttmp9, s5
	s_delay_alu instid0(SALU_CYCLE_1) | instskip(SKIP_1) | instid1(VALU_DEP_1)
	v_lshl_or_b32 v0, s4, 8, v0
	s_wait_kmcnt 0x0
	v_cmp_gt_i64_e32 vcc_lo, s[2:3], v[0:1]
	s_and_saveexec_b32 s2, vcc_lo
	s_cbranch_execz .LBB60_3
; %bb.1:
	s_load_b64 s[2:3], s[0:1], 0x8
	s_wait_kmcnt 0x0
	v_lshl_add_u64 v[0:1], v[0:1], 3, s[2:3]
	s_load_b64 s[2:3], s[2:3], 0x0
	global_load_b128 v[0:3], v[0:1], off
	s_wait_loadcnt 0x0
	s_wait_kmcnt 0x0
	v_max_i64 v[4:5], s[2:3], v[0:1]
	v_cmp_gt_i64_e32 vcc_lo, s[2:3], v[0:1]
	s_delay_alu instid0(VALU_DEP_2) | instskip(SKIP_1) | instid1(SALU_CYCLE_1)
	v_cmp_gt_i64_e64 s2, v[4:5], v[2:3]
	s_or_b32 s2, vcc_lo, s2
	s_and_b32 exec_lo, exec_lo, s2
	s_cbranch_execz .LBB60_3
; %bb.2:
	s_load_b64 s[0:1], s[0:1], 0x10
	v_dual_mov_b32 v0, 0 :: v_dual_mov_b32 v1, 3
	s_wait_kmcnt 0x0
	global_store_b32 v0, v1, s[0:1]
.LBB60_3:
	s_endpgm
	.section	.rodata,"a",@progbits
	.p2align	6, 0x0
	.amdhsa_kernel _ZN9rocsparseL19check_row_ptr_arrayILj256EllEEvT1_PKT0_P22rocsparse_data_status_
		.amdhsa_group_segment_fixed_size 0
		.amdhsa_private_segment_fixed_size 0
		.amdhsa_kernarg_size 24
		.amdhsa_user_sgpr_count 2
		.amdhsa_user_sgpr_dispatch_ptr 0
		.amdhsa_user_sgpr_queue_ptr 0
		.amdhsa_user_sgpr_kernarg_segment_ptr 1
		.amdhsa_user_sgpr_dispatch_id 0
		.amdhsa_user_sgpr_kernarg_preload_length 0
		.amdhsa_user_sgpr_kernarg_preload_offset 0
		.amdhsa_user_sgpr_private_segment_size 0
		.amdhsa_wavefront_size32 1
		.amdhsa_uses_dynamic_stack 0
		.amdhsa_enable_private_segment 0
		.amdhsa_system_sgpr_workgroup_id_x 1
		.amdhsa_system_sgpr_workgroup_id_y 0
		.amdhsa_system_sgpr_workgroup_id_z 0
		.amdhsa_system_sgpr_workgroup_info 0
		.amdhsa_system_vgpr_workitem_id 0
		.amdhsa_next_free_vgpr 6
		.amdhsa_next_free_sgpr 7
		.amdhsa_named_barrier_count 0
		.amdhsa_reserve_vcc 1
		.amdhsa_float_round_mode_32 0
		.amdhsa_float_round_mode_16_64 0
		.amdhsa_float_denorm_mode_32 3
		.amdhsa_float_denorm_mode_16_64 3
		.amdhsa_fp16_overflow 0
		.amdhsa_memory_ordered 1
		.amdhsa_forward_progress 1
		.amdhsa_inst_pref_size 2
		.amdhsa_round_robin_scheduling 0
		.amdhsa_exception_fp_ieee_invalid_op 0
		.amdhsa_exception_fp_denorm_src 0
		.amdhsa_exception_fp_ieee_div_zero 0
		.amdhsa_exception_fp_ieee_overflow 0
		.amdhsa_exception_fp_ieee_underflow 0
		.amdhsa_exception_fp_ieee_inexact 0
		.amdhsa_exception_int_div_zero 0
	.end_amdhsa_kernel
	.section	.text._ZN9rocsparseL19check_row_ptr_arrayILj256EllEEvT1_PKT0_P22rocsparse_data_status_,"axG",@progbits,_ZN9rocsparseL19check_row_ptr_arrayILj256EllEEvT1_PKT0_P22rocsparse_data_status_,comdat
.Lfunc_end60:
	.size	_ZN9rocsparseL19check_row_ptr_arrayILj256EllEEvT1_PKT0_P22rocsparse_data_status_, .Lfunc_end60-_ZN9rocsparseL19check_row_ptr_arrayILj256EllEEvT1_PKT0_P22rocsparse_data_status_
                                        ; -- End function
	.set _ZN9rocsparseL19check_row_ptr_arrayILj256EllEEvT1_PKT0_P22rocsparse_data_status_.num_vgpr, 6
	.set _ZN9rocsparseL19check_row_ptr_arrayILj256EllEEvT1_PKT0_P22rocsparse_data_status_.num_agpr, 0
	.set _ZN9rocsparseL19check_row_ptr_arrayILj256EllEEvT1_PKT0_P22rocsparse_data_status_.numbered_sgpr, 7
	.set _ZN9rocsparseL19check_row_ptr_arrayILj256EllEEvT1_PKT0_P22rocsparse_data_status_.num_named_barrier, 0
	.set _ZN9rocsparseL19check_row_ptr_arrayILj256EllEEvT1_PKT0_P22rocsparse_data_status_.private_seg_size, 0
	.set _ZN9rocsparseL19check_row_ptr_arrayILj256EllEEvT1_PKT0_P22rocsparse_data_status_.uses_vcc, 1
	.set _ZN9rocsparseL19check_row_ptr_arrayILj256EllEEvT1_PKT0_P22rocsparse_data_status_.uses_flat_scratch, 0
	.set _ZN9rocsparseL19check_row_ptr_arrayILj256EllEEvT1_PKT0_P22rocsparse_data_status_.has_dyn_sized_stack, 0
	.set _ZN9rocsparseL19check_row_ptr_arrayILj256EllEEvT1_PKT0_P22rocsparse_data_status_.has_recursion, 0
	.set _ZN9rocsparseL19check_row_ptr_arrayILj256EllEEvT1_PKT0_P22rocsparse_data_status_.has_indirect_call, 0
	.section	.AMDGPU.csdata,"",@progbits
; Kernel info:
; codeLenInByte = 196
; TotalNumSgprs: 9
; NumVgprs: 6
; ScratchSize: 0
; MemoryBound: 0
; FloatMode: 240
; IeeeMode: 1
; LDSByteSize: 0 bytes/workgroup (compile time only)
; SGPRBlocks: 0
; VGPRBlocks: 0
; NumSGPRsForWavesPerEU: 9
; NumVGPRsForWavesPerEU: 6
; NamedBarCnt: 0
; Occupancy: 16
; WaveLimiterHint : 0
; COMPUTE_PGM_RSRC2:SCRATCH_EN: 0
; COMPUTE_PGM_RSRC2:USER_SGPR: 2
; COMPUTE_PGM_RSRC2:TRAP_HANDLER: 0
; COMPUTE_PGM_RSRC2:TGID_X_EN: 1
; COMPUTE_PGM_RSRC2:TGID_Y_EN: 0
; COMPUTE_PGM_RSRC2:TGID_Z_EN: 0
; COMPUTE_PGM_RSRC2:TIDIG_COMP_CNT: 0
	.section	.text._ZN9rocsparseL20shift_offsets_kernelILj512EllEEvT1_PKT0_PS2_,"axG",@progbits,_ZN9rocsparseL20shift_offsets_kernelILj512EllEEvT1_PKT0_PS2_,comdat
	.globl	_ZN9rocsparseL20shift_offsets_kernelILj512EllEEvT1_PKT0_PS2_ ; -- Begin function _ZN9rocsparseL20shift_offsets_kernelILj512EllEEvT1_PKT0_PS2_
	.p2align	8
	.type	_ZN9rocsparseL20shift_offsets_kernelILj512EllEEvT1_PKT0_PS2_,@function
_ZN9rocsparseL20shift_offsets_kernelILj512EllEEvT1_PKT0_PS2_: ; @_ZN9rocsparseL20shift_offsets_kernelILj512EllEEvT1_PKT0_PS2_
; %bb.0:
	s_load_b64 s[2:3], s[0:1], 0x0
	s_bfe_u32 s4, ttmp6, 0x4000c
	s_and_b32 s5, ttmp6, 15
	s_add_co_i32 s4, s4, 1
	s_getreg_b32 s6, hwreg(HW_REG_IB_STS2, 6, 4)
	s_mul_i32 s4, ttmp9, s4
	v_mov_b32_e32 v1, 0
	s_add_co_i32 s5, s5, s4
	s_cmp_eq_u32 s6, 0
	s_cselect_b32 s4, ttmp9, s5
	s_delay_alu instid0(SALU_CYCLE_1) | instskip(SKIP_1) | instid1(VALU_DEP_1)
	v_lshl_or_b32 v0, s4, 9, v0
	s_wait_kmcnt 0x0
	v_cmp_gt_i64_e32 vcc_lo, s[2:3], v[0:1]
	s_and_saveexec_b32 s2, vcc_lo
	s_cbranch_execz .LBB61_2
; %bb.1:
	s_load_b128 s[4:7], s[0:1], 0x8
	v_lshlrev_b64_e32 v[0:1], 3, v[0:1]
	s_wait_kmcnt 0x0
	s_delay_alu instid0(VALU_DEP_1)
	v_add_nc_u64_e32 v[2:3], s[4:5], v[0:1]
	v_add_nc_u64_e32 v[0:1], s[6:7], v[0:1]
	s_load_b64 s[0:1], s[4:5], 0x0
	global_load_b64 v[2:3], v[2:3], off
	s_wait_loadcnt 0x0
	s_wait_kmcnt 0x0
	v_sub_nc_u64_e64 v[2:3], v[2:3], s[0:1]
	global_store_b64 v[0:1], v[2:3], off
.LBB61_2:
	s_endpgm
	.section	.rodata,"a",@progbits
	.p2align	6, 0x0
	.amdhsa_kernel _ZN9rocsparseL20shift_offsets_kernelILj512EllEEvT1_PKT0_PS2_
		.amdhsa_group_segment_fixed_size 0
		.amdhsa_private_segment_fixed_size 0
		.amdhsa_kernarg_size 24
		.amdhsa_user_sgpr_count 2
		.amdhsa_user_sgpr_dispatch_ptr 0
		.amdhsa_user_sgpr_queue_ptr 0
		.amdhsa_user_sgpr_kernarg_segment_ptr 1
		.amdhsa_user_sgpr_dispatch_id 0
		.amdhsa_user_sgpr_kernarg_preload_length 0
		.amdhsa_user_sgpr_kernarg_preload_offset 0
		.amdhsa_user_sgpr_private_segment_size 0
		.amdhsa_wavefront_size32 1
		.amdhsa_uses_dynamic_stack 0
		.amdhsa_enable_private_segment 0
		.amdhsa_system_sgpr_workgroup_id_x 1
		.amdhsa_system_sgpr_workgroup_id_y 0
		.amdhsa_system_sgpr_workgroup_id_z 0
		.amdhsa_system_sgpr_workgroup_info 0
		.amdhsa_system_vgpr_workitem_id 0
		.amdhsa_next_free_vgpr 4
		.amdhsa_next_free_sgpr 8
		.amdhsa_named_barrier_count 0
		.amdhsa_reserve_vcc 1
		.amdhsa_float_round_mode_32 0
		.amdhsa_float_round_mode_16_64 0
		.amdhsa_float_denorm_mode_32 3
		.amdhsa_float_denorm_mode_16_64 3
		.amdhsa_fp16_overflow 0
		.amdhsa_memory_ordered 1
		.amdhsa_forward_progress 1
		.amdhsa_inst_pref_size 2
		.amdhsa_round_robin_scheduling 0
		.amdhsa_exception_fp_ieee_invalid_op 0
		.amdhsa_exception_fp_denorm_src 0
		.amdhsa_exception_fp_ieee_div_zero 0
		.amdhsa_exception_fp_ieee_overflow 0
		.amdhsa_exception_fp_ieee_underflow 0
		.amdhsa_exception_fp_ieee_inexact 0
		.amdhsa_exception_int_div_zero 0
	.end_amdhsa_kernel
	.section	.text._ZN9rocsparseL20shift_offsets_kernelILj512EllEEvT1_PKT0_PS2_,"axG",@progbits,_ZN9rocsparseL20shift_offsets_kernelILj512EllEEvT1_PKT0_PS2_,comdat
.Lfunc_end61:
	.size	_ZN9rocsparseL20shift_offsets_kernelILj512EllEEvT1_PKT0_PS2_, .Lfunc_end61-_ZN9rocsparseL20shift_offsets_kernelILj512EllEEvT1_PKT0_PS2_
                                        ; -- End function
	.set _ZN9rocsparseL20shift_offsets_kernelILj512EllEEvT1_PKT0_PS2_.num_vgpr, 4
	.set _ZN9rocsparseL20shift_offsets_kernelILj512EllEEvT1_PKT0_PS2_.num_agpr, 0
	.set _ZN9rocsparseL20shift_offsets_kernelILj512EllEEvT1_PKT0_PS2_.numbered_sgpr, 8
	.set _ZN9rocsparseL20shift_offsets_kernelILj512EllEEvT1_PKT0_PS2_.num_named_barrier, 0
	.set _ZN9rocsparseL20shift_offsets_kernelILj512EllEEvT1_PKT0_PS2_.private_seg_size, 0
	.set _ZN9rocsparseL20shift_offsets_kernelILj512EllEEvT1_PKT0_PS2_.uses_vcc, 1
	.set _ZN9rocsparseL20shift_offsets_kernelILj512EllEEvT1_PKT0_PS2_.uses_flat_scratch, 0
	.set _ZN9rocsparseL20shift_offsets_kernelILj512EllEEvT1_PKT0_PS2_.has_dyn_sized_stack, 0
	.set _ZN9rocsparseL20shift_offsets_kernelILj512EllEEvT1_PKT0_PS2_.has_recursion, 0
	.set _ZN9rocsparseL20shift_offsets_kernelILj512EllEEvT1_PKT0_PS2_.has_indirect_call, 0
	.section	.AMDGPU.csdata,"",@progbits
; Kernel info:
; codeLenInByte = 156
; TotalNumSgprs: 10
; NumVgprs: 4
; ScratchSize: 0
; MemoryBound: 1
; FloatMode: 240
; IeeeMode: 1
; LDSByteSize: 0 bytes/workgroup (compile time only)
; SGPRBlocks: 0
; VGPRBlocks: 0
; NumSGPRsForWavesPerEU: 10
; NumVGPRsForWavesPerEU: 4
; NamedBarCnt: 0
; Occupancy: 16
; WaveLimiterHint : 0
; COMPUTE_PGM_RSRC2:SCRATCH_EN: 0
; COMPUTE_PGM_RSRC2:USER_SGPR: 2
; COMPUTE_PGM_RSRC2:TRAP_HANDLER: 0
; COMPUTE_PGM_RSRC2:TGID_X_EN: 1
; COMPUTE_PGM_RSRC2:TGID_Y_EN: 0
; COMPUTE_PGM_RSRC2:TGID_Z_EN: 0
; COMPUTE_PGM_RSRC2:TIDIG_COMP_CNT: 0
	.section	.text._ZN9rocsparseL23check_matrix_csr_deviceILj256ELj4EfllEEvT3_S1_T2_PKT1_PKS2_PKS1_S9_21rocsparse_index_base_22rocsparse_matrix_type_20rocsparse_fill_mode_23rocsparse_storage_mode_P22rocsparse_data_status_,"axG",@progbits,_ZN9rocsparseL23check_matrix_csr_deviceILj256ELj4EfllEEvT3_S1_T2_PKT1_PKS2_PKS1_S9_21rocsparse_index_base_22rocsparse_matrix_type_20rocsparse_fill_mode_23rocsparse_storage_mode_P22rocsparse_data_status_,comdat
	.globl	_ZN9rocsparseL23check_matrix_csr_deviceILj256ELj4EfllEEvT3_S1_T2_PKT1_PKS2_PKS1_S9_21rocsparse_index_base_22rocsparse_matrix_type_20rocsparse_fill_mode_23rocsparse_storage_mode_P22rocsparse_data_status_ ; -- Begin function _ZN9rocsparseL23check_matrix_csr_deviceILj256ELj4EfllEEvT3_S1_T2_PKT1_PKS2_PKS1_S9_21rocsparse_index_base_22rocsparse_matrix_type_20rocsparse_fill_mode_23rocsparse_storage_mode_P22rocsparse_data_status_
	.p2align	8
	.type	_ZN9rocsparseL23check_matrix_csr_deviceILj256ELj4EfllEEvT3_S1_T2_PKT1_PKS2_PKS1_S9_21rocsparse_index_base_22rocsparse_matrix_type_20rocsparse_fill_mode_23rocsparse_storage_mode_P22rocsparse_data_status_,@function
_ZN9rocsparseL23check_matrix_csr_deviceILj256ELj4EfllEEvT3_S1_T2_PKT1_PKS2_PKS1_S9_21rocsparse_index_base_22rocsparse_matrix_type_20rocsparse_fill_mode_23rocsparse_storage_mode_P22rocsparse_data_status_: ; @_ZN9rocsparseL23check_matrix_csr_deviceILj256ELj4EfllEEvT3_S1_T2_PKT1_PKS2_PKS1_S9_21rocsparse_index_base_22rocsparse_matrix_type_20rocsparse_fill_mode_23rocsparse_storage_mode_P22rocsparse_data_status_
; %bb.0:
	s_bfe_u32 s2, ttmp6, 0x4000c
	s_load_b128 s[4:7], s[0:1], 0x0
	s_add_co_i32 s2, s2, 1
	s_and_b32 s3, ttmp6, 15
	s_mul_i32 s2, ttmp9, s2
	s_getreg_b32 s8, hwreg(HW_REG_IB_STS2, 6, 4)
	s_add_co_i32 s3, s3, s2
	s_cmp_eq_u32 s8, 0
	v_mov_b32_e32 v3, 0
	s_cselect_b32 s2, ttmp9, s3
	s_delay_alu instid0(SALU_CYCLE_1) | instskip(SKIP_1) | instid1(VALU_DEP_1)
	v_lshl_or_b32 v1, s2, 8, v0
	s_mov_b32 s2, exec_lo
	v_lshrrev_b32_e32 v2, 2, v1
	s_wait_kmcnt 0x0
	s_delay_alu instid0(VALU_DEP_1)
	v_cmpx_gt_i64_e64 s[4:5], v[2:3]
	s_cbranch_execz .LBB62_31
; %bb.1:
	s_load_b64 s[2:3], s[0:1], 0x20
	v_mov_b32_e32 v18, 3
	s_wait_kmcnt 0x0
	v_lshl_add_u64 v[4:5], v[2:3], 3, s[2:3]
	s_load_b64 s[2:3], s[2:3], 0x0
	global_load_b128 v[8:11], v[4:5], off
	s_wait_loadcnt 0x0
	s_wait_kmcnt 0x0
	v_sub_nc_u64_e64 v[4:5], v[10:11], s[2:3]
	v_sub_nc_u64_e64 v[6:7], v[8:9], s[2:3]
	v_cmp_lt_i64_e64 s2, v[10:11], v[8:9]
	s_delay_alu instid0(VALU_DEP_3) | instskip(NEXT) | instid1(VALU_DEP_3)
	v_cmp_gt_i64_e32 vcc_lo, 0, v[4:5]
	v_cmp_lt_i64_e64 s3, -1, v[6:7]
	s_or_b32 s2, vcc_lo, s2
	s_delay_alu instid0(SALU_CYCLE_1) | instskip(SKIP_2) | instid1(SALU_CYCLE_1)
	s_xor_b32 s4, s2, -1
	s_mov_b32 s2, -1
	s_and_b32 s3, s3, s4
	s_and_saveexec_b32 s8, s3
	s_cbranch_execz .LBB62_29
; %bb.2:
	v_dual_mov_b32 v1, 0 :: v_dual_bitop2_b32 v0, 3, v0 bitop3:0x40
	v_mov_b32_e32 v18, 3
	s_mov_b32 s2, 0
	s_mov_b32 s9, exec_lo
	s_delay_alu instid0(VALU_DEP_2) | instskip(NEXT) | instid1(VALU_DEP_1)
	v_add_nc_u64_e32 v[0:1], v[6:7], v[0:1]
	v_cmpx_lt_u64_e64 v[0:1], v[4:5]
	s_cbranch_execz .LBB62_28
; %bb.3:
	s_clause 0x1
	s_load_b256 s[12:19], s[0:1], 0x28
	s_load_b64 s[2:3], s[0:1], 0x18
	v_lshlrev_b64_e32 v[10:11], 3, v[0:1]
	s_mov_b32 s5, 0
	s_wait_kmcnt 0x0
	s_delay_alu instid0(VALU_DEP_1)
	v_add_nc_u64_e32 v[8:9], s[14:15], v[10:11]
	s_cmp_lg_u32 s17, 0
	v_add_nc_u64_e32 v[10:11], s[12:13], v[10:11]
	s_cselect_b32 s10, -1, 0
	s_cmp_lg_u32 s18, 0
	v_lshl_add_u64 v[12:13], v[0:1], 2, s[2:3]
	s_cselect_b32 s11, -1, 0
	v_add_nc_u64_e32 v[8:9], -8, v[8:9]
	s_cmp_lg_u32 s19, 0
	s_mov_b32 s4, s16
	s_cselect_b32 s12, -1, 0
	s_mov_b32 s13, s5
                                        ; implicit-def: $sgpr14
                                        ; implicit-def: $sgpr15
                                        ; implicit-def: $sgpr16
	s_branch .LBB62_10
.LBB62_4:                               ;   in Loop: Header=BB62_10 Depth=1
	s_or_b32 exec_lo, exec_lo, s3
	s_delay_alu instid0(SALU_CYCLE_1)
	s_or_not1_b32 s24, s2, exec_lo
	s_or_not1_b32 s2, s21, exec_lo
.LBB62_5:                               ;   in Loop: Header=BB62_10 Depth=1
	s_or_b32 exec_lo, exec_lo, s22
	s_delay_alu instid0(SALU_CYCLE_1)
	s_or_not1_b32 s3, s24, exec_lo
	s_or_not1_b32 s2, s2, exec_lo
.LBB62_6:                               ;   in Loop: Header=BB62_10 Depth=1
	s_or_b32 exec_lo, exec_lo, s20
	s_delay_alu instid0(SALU_CYCLE_1)
	s_or_not1_b32 s3, s3, exec_lo
	s_or_not1_b32 s2, s2, exec_lo
.LBB62_7:                               ;   in Loop: Header=BB62_10 Depth=1
	s_or_b32 exec_lo, exec_lo, s19
	s_delay_alu instid0(SALU_CYCLE_1)
	s_or_not1_b32 s3, s3, exec_lo
	s_or_not1_b32 s2, s2, exec_lo
.LBB62_8:                               ;   in Loop: Header=BB62_10 Depth=1
	s_or_b32 exec_lo, exec_lo, s18
	s_delay_alu instid0(SALU_CYCLE_1)
	s_and_not1_b32 s16, s16, exec_lo
	s_and_b32 s3, s3, exec_lo
	s_and_not1_b32 s15, s15, exec_lo
	s_and_b32 s2, s2, exec_lo
	s_or_b32 s16, s16, s3
	s_or_b32 s15, s15, s2
.LBB62_9:                               ;   in Loop: Header=BB62_10 Depth=1
	s_or_b32 exec_lo, exec_lo, s17
	s_delay_alu instid0(SALU_CYCLE_1) | instskip(NEXT) | instid1(SALU_CYCLE_1)
	s_and_b32 s2, exec_lo, s15
	s_or_b32 s13, s2, s13
	s_and_not1_b32 s2, s14, exec_lo
	s_and_b32 s3, s16, exec_lo
	s_delay_alu instid0(SALU_CYCLE_1)
	s_or_b32 s14, s2, s3
	s_and_not1_b32 exec_lo, exec_lo, s13
	s_cbranch_execz .LBB62_27
.LBB62_10:                              ; =>This Inner Loop Header: Depth=1
	global_load_b64 v[14:15], v[10:11], off
	v_mov_b32_e32 v18, 4
	s_or_b32 s16, s16, exec_lo
	s_or_b32 s15, s15, exec_lo
	s_wait_loadcnt 0x0
	v_sub_nc_u64_e64 v[16:17], v[14:15], s[4:5]
	s_delay_alu instid0(VALU_DEP_1) | instskip(SKIP_2) | instid1(SALU_CYCLE_1)
	v_cmp_lt_i64_e32 vcc_lo, -1, v[16:17]
	v_cmp_gt_i64_e64 s2, s[6:7], v[16:17]
	s_and_b32 s2, vcc_lo, s2
	s_and_saveexec_b32 s17, s2
	s_cbranch_execz .LBB62_9
; %bb.11:                               ;   in Loop: Header=BB62_10 Depth=1
	v_cmp_le_i64_e64 s21, v[0:1], v[6:7]
	v_mov_b32_e32 v18, 4
	s_mov_b32 s18, exec_lo
	s_mov_b32 s19, s21
	v_cmpx_gt_i64_e64 v[0:1], v[6:7]
	s_cbranch_execz .LBB62_13
; %bb.12:                               ;   in Loop: Header=BB62_10 Depth=1
	global_load_b128 v[18:21], v[8:9], off
	s_wait_loadcnt 0x0
	v_sub_nc_u64_e64 v[22:23], v[18:19], s[4:5]
	v_cmp_ne_u64_e64 s3, v[20:21], v[18:19]
	v_mov_b32_e32 v18, 5
	s_delay_alu instid0(VALU_DEP_3) | instskip(SKIP_2) | instid1(SALU_CYCLE_1)
	v_cmp_lt_i64_e32 vcc_lo, -1, v[22:23]
	v_cmp_gt_i64_e64 s2, s[6:7], v[22:23]
	s_and_b32 s2, vcc_lo, s2
	s_xor_b32 s2, s2, -1
	s_delay_alu instid0(SALU_CYCLE_1) | instskip(SKIP_2) | instid1(SALU_CYCLE_1)
	s_or_b32 s2, s3, s2
	s_and_not1_b32 s3, s21, exec_lo
	s_and_b32 s2, s2, exec_lo
	s_or_b32 s19, s3, s2
.LBB62_13:                              ;   in Loop: Header=BB62_10 Depth=1
	s_or_b32 exec_lo, exec_lo, s18
	s_mov_b32 s2, -1
	s_mov_b32 s3, -1
	s_and_saveexec_b32 s18, s19
	s_cbranch_execz .LBB62_8
; %bb.14:                               ;   in Loop: Header=BB62_10 Depth=1
	global_load_b32 v19, v[12:13], off
	v_mov_b32_e32 v18, 1
	s_mov_b32 s19, exec_lo
	s_wait_loadcnt 0x0
	v_cmpx_neq_f32_e32 0x7f800000, v19
	s_cbranch_execz .LBB62_7
; %bb.15:                               ;   in Loop: Header=BB62_10 Depth=1
	v_mov_b32_e32 v18, 2
	s_mov_b32 s20, exec_lo
	v_cmpx_o_f32_e32 v19, v19
	s_cbranch_execz .LBB62_6
; %bb.16:                               ;   in Loop: Header=BB62_10 Depth=1
	s_and_b32 vcc_lo, exec_lo, s10
	s_cbranch_vccz .LBB62_19
; %bb.17:                               ;   in Loop: Header=BB62_10 Depth=1
	s_and_b32 vcc_lo, exec_lo, s11
	s_cbranch_vccz .LBB62_20
; %bb.18:                               ;   in Loop: Header=BB62_10 Depth=1
	v_cmp_ge_i64_e32 vcc_lo, v[16:17], v[2:3]
	s_mov_b32 s3, 7
	s_and_b32 s23, vcc_lo, exec_lo
	s_cbranch_execz .LBB62_21
	s_branch .LBB62_22
.LBB62_19:                              ;   in Loop: Header=BB62_10 Depth=1
	s_mov_b32 s3, 2
	s_mov_b32 s23, -1
	s_branch .LBB62_22
.LBB62_20:                              ;   in Loop: Header=BB62_10 Depth=1
	s_mov_b32 s23, 0
	s_mov_b32 s3, 2
.LBB62_21:                              ;   in Loop: Header=BB62_10 Depth=1
	v_cmp_le_i64_e32 vcc_lo, v[16:17], v[2:3]
	s_and_not1_b32 s22, s23, exec_lo
	s_mov_b32 s3, 7
	s_and_b32 s23, vcc_lo, exec_lo
	s_delay_alu instid0(SALU_CYCLE_1)
	s_or_b32 s23, s22, s23
.LBB62_22:                              ;   in Loop: Header=BB62_10 Depth=1
	v_mov_b32_e32 v18, s3
	s_mov_b32 s24, -1
	s_and_saveexec_b32 s22, s23
	s_cbranch_execz .LBB62_5
; %bb.23:                               ;   in Loop: Header=BB62_10 Depth=1
	v_mov_b32_e32 v18, s3
	s_nor_b32 s2, s12, s21
	s_mov_b32 s21, -1
	s_and_saveexec_b32 s23, s2
	s_cbranch_execz .LBB62_25
; %bb.24:                               ;   in Loop: Header=BB62_10 Depth=1
	global_load_b64 v[16:17], v[10:11], off offset:-8
	s_wait_loadcnt 0x0
	v_sub_nc_u64_e64 v[18:19], v[16:17], s[4:5]
	v_cmp_gt_i64_e64 s3, v[14:15], v[16:17]
	s_delay_alu instid0(VALU_DEP_2) | instskip(SKIP_3) | instid1(SALU_CYCLE_1)
	v_cmp_lt_i64_e32 vcc_lo, -1, v[18:19]
	v_cmp_gt_i64_e64 s2, s[6:7], v[18:19]
	v_mov_b32_e32 v18, 6
	s_and_b32 s2, vcc_lo, s2
	s_xor_b32 s2, s2, -1
	s_delay_alu instid0(SALU_CYCLE_1) | instskip(NEXT) | instid1(SALU_CYCLE_1)
	s_or_b32 s2, s3, s2
	s_or_not1_b32 s24, s2, exec_lo
.LBB62_25:                              ;   in Loop: Header=BB62_10 Depth=1
	s_or_b32 exec_lo, exec_lo, s23
	s_mov_b32 s2, -1
	s_and_saveexec_b32 s3, s24
	s_cbranch_execz .LBB62_4
; %bb.26:                               ;   in Loop: Header=BB62_10 Depth=1
	v_add_nc_u64_e32 v[0:1], 4, v[0:1]
	v_add_nc_u64_e32 v[8:9], 32, v[8:9]
	;; [unrolled: 1-line block ×4, first 2 shown]
	s_xor_b32 s2, exec_lo, -1
	s_delay_alu instid0(VALU_DEP_4)
	v_cmp_ge_i64_e32 vcc_lo, v[0:1], v[4:5]
	s_or_not1_b32 s21, vcc_lo, exec_lo
	s_branch .LBB62_4
.LBB62_27:
	s_or_b32 exec_lo, exec_lo, s13
	s_delay_alu instid0(SALU_CYCLE_1)
	s_and_b32 s2, s14, exec_lo
.LBB62_28:
	s_or_b32 exec_lo, exec_lo, s9
	s_delay_alu instid0(SALU_CYCLE_1)
	s_or_not1_b32 s2, s2, exec_lo
.LBB62_29:
	s_or_b32 exec_lo, exec_lo, s8
	s_delay_alu instid0(SALU_CYCLE_1)
	s_and_b32 exec_lo, exec_lo, s2
	s_cbranch_execz .LBB62_31
; %bb.30:
	s_load_b64 s[0:1], s[0:1], 0x48
	v_mov_b32_e32 v0, 0
	s_wait_kmcnt 0x0
	global_store_b32 v0, v18, s[0:1]
.LBB62_31:
	s_endpgm
	.section	.rodata,"a",@progbits
	.p2align	6, 0x0
	.amdhsa_kernel _ZN9rocsparseL23check_matrix_csr_deviceILj256ELj4EfllEEvT3_S1_T2_PKT1_PKS2_PKS1_S9_21rocsparse_index_base_22rocsparse_matrix_type_20rocsparse_fill_mode_23rocsparse_storage_mode_P22rocsparse_data_status_
		.amdhsa_group_segment_fixed_size 0
		.amdhsa_private_segment_fixed_size 0
		.amdhsa_kernarg_size 80
		.amdhsa_user_sgpr_count 2
		.amdhsa_user_sgpr_dispatch_ptr 0
		.amdhsa_user_sgpr_queue_ptr 0
		.amdhsa_user_sgpr_kernarg_segment_ptr 1
		.amdhsa_user_sgpr_dispatch_id 0
		.amdhsa_user_sgpr_kernarg_preload_length 0
		.amdhsa_user_sgpr_kernarg_preload_offset 0
		.amdhsa_user_sgpr_private_segment_size 0
		.amdhsa_wavefront_size32 1
		.amdhsa_uses_dynamic_stack 0
		.amdhsa_enable_private_segment 0
		.amdhsa_system_sgpr_workgroup_id_x 1
		.amdhsa_system_sgpr_workgroup_id_y 0
		.amdhsa_system_sgpr_workgroup_id_z 0
		.amdhsa_system_sgpr_workgroup_info 0
		.amdhsa_system_vgpr_workitem_id 0
		.amdhsa_next_free_vgpr 24
		.amdhsa_next_free_sgpr 25
		.amdhsa_named_barrier_count 0
		.amdhsa_reserve_vcc 1
		.amdhsa_float_round_mode_32 0
		.amdhsa_float_round_mode_16_64 0
		.amdhsa_float_denorm_mode_32 3
		.amdhsa_float_denorm_mode_16_64 3
		.amdhsa_fp16_overflow 0
		.amdhsa_memory_ordered 1
		.amdhsa_forward_progress 1
		.amdhsa_inst_pref_size 9
		.amdhsa_round_robin_scheduling 0
		.amdhsa_exception_fp_ieee_invalid_op 0
		.amdhsa_exception_fp_denorm_src 0
		.amdhsa_exception_fp_ieee_div_zero 0
		.amdhsa_exception_fp_ieee_overflow 0
		.amdhsa_exception_fp_ieee_underflow 0
		.amdhsa_exception_fp_ieee_inexact 0
		.amdhsa_exception_int_div_zero 0
	.end_amdhsa_kernel
	.section	.text._ZN9rocsparseL23check_matrix_csr_deviceILj256ELj4EfllEEvT3_S1_T2_PKT1_PKS2_PKS1_S9_21rocsparse_index_base_22rocsparse_matrix_type_20rocsparse_fill_mode_23rocsparse_storage_mode_P22rocsparse_data_status_,"axG",@progbits,_ZN9rocsparseL23check_matrix_csr_deviceILj256ELj4EfllEEvT3_S1_T2_PKT1_PKS2_PKS1_S9_21rocsparse_index_base_22rocsparse_matrix_type_20rocsparse_fill_mode_23rocsparse_storage_mode_P22rocsparse_data_status_,comdat
.Lfunc_end62:
	.size	_ZN9rocsparseL23check_matrix_csr_deviceILj256ELj4EfllEEvT3_S1_T2_PKT1_PKS2_PKS1_S9_21rocsparse_index_base_22rocsparse_matrix_type_20rocsparse_fill_mode_23rocsparse_storage_mode_P22rocsparse_data_status_, .Lfunc_end62-_ZN9rocsparseL23check_matrix_csr_deviceILj256ELj4EfllEEvT3_S1_T2_PKT1_PKS2_PKS1_S9_21rocsparse_index_base_22rocsparse_matrix_type_20rocsparse_fill_mode_23rocsparse_storage_mode_P22rocsparse_data_status_
                                        ; -- End function
	.set _ZN9rocsparseL23check_matrix_csr_deviceILj256ELj4EfllEEvT3_S1_T2_PKT1_PKS2_PKS1_S9_21rocsparse_index_base_22rocsparse_matrix_type_20rocsparse_fill_mode_23rocsparse_storage_mode_P22rocsparse_data_status_.num_vgpr, 24
	.set _ZN9rocsparseL23check_matrix_csr_deviceILj256ELj4EfllEEvT3_S1_T2_PKT1_PKS2_PKS1_S9_21rocsparse_index_base_22rocsparse_matrix_type_20rocsparse_fill_mode_23rocsparse_storage_mode_P22rocsparse_data_status_.num_agpr, 0
	.set _ZN9rocsparseL23check_matrix_csr_deviceILj256ELj4EfllEEvT3_S1_T2_PKT1_PKS2_PKS1_S9_21rocsparse_index_base_22rocsparse_matrix_type_20rocsparse_fill_mode_23rocsparse_storage_mode_P22rocsparse_data_status_.numbered_sgpr, 25
	.set _ZN9rocsparseL23check_matrix_csr_deviceILj256ELj4EfllEEvT3_S1_T2_PKT1_PKS2_PKS1_S9_21rocsparse_index_base_22rocsparse_matrix_type_20rocsparse_fill_mode_23rocsparse_storage_mode_P22rocsparse_data_status_.num_named_barrier, 0
	.set _ZN9rocsparseL23check_matrix_csr_deviceILj256ELj4EfllEEvT3_S1_T2_PKT1_PKS2_PKS1_S9_21rocsparse_index_base_22rocsparse_matrix_type_20rocsparse_fill_mode_23rocsparse_storage_mode_P22rocsparse_data_status_.private_seg_size, 0
	.set _ZN9rocsparseL23check_matrix_csr_deviceILj256ELj4EfllEEvT3_S1_T2_PKT1_PKS2_PKS1_S9_21rocsparse_index_base_22rocsparse_matrix_type_20rocsparse_fill_mode_23rocsparse_storage_mode_P22rocsparse_data_status_.uses_vcc, 1
	.set _ZN9rocsparseL23check_matrix_csr_deviceILj256ELj4EfllEEvT3_S1_T2_PKT1_PKS2_PKS1_S9_21rocsparse_index_base_22rocsparse_matrix_type_20rocsparse_fill_mode_23rocsparse_storage_mode_P22rocsparse_data_status_.uses_flat_scratch, 0
	.set _ZN9rocsparseL23check_matrix_csr_deviceILj256ELj4EfllEEvT3_S1_T2_PKT1_PKS2_PKS1_S9_21rocsparse_index_base_22rocsparse_matrix_type_20rocsparse_fill_mode_23rocsparse_storage_mode_P22rocsparse_data_status_.has_dyn_sized_stack, 0
	.set _ZN9rocsparseL23check_matrix_csr_deviceILj256ELj4EfllEEvT3_S1_T2_PKT1_PKS2_PKS1_S9_21rocsparse_index_base_22rocsparse_matrix_type_20rocsparse_fill_mode_23rocsparse_storage_mode_P22rocsparse_data_status_.has_recursion, 0
	.set _ZN9rocsparseL23check_matrix_csr_deviceILj256ELj4EfllEEvT3_S1_T2_PKT1_PKS2_PKS1_S9_21rocsparse_index_base_22rocsparse_matrix_type_20rocsparse_fill_mode_23rocsparse_storage_mode_P22rocsparse_data_status_.has_indirect_call, 0
	.section	.AMDGPU.csdata,"",@progbits
; Kernel info:
; codeLenInByte = 1040
; TotalNumSgprs: 27
; NumVgprs: 24
; ScratchSize: 0
; MemoryBound: 0
; FloatMode: 240
; IeeeMode: 1
; LDSByteSize: 0 bytes/workgroup (compile time only)
; SGPRBlocks: 0
; VGPRBlocks: 1
; NumSGPRsForWavesPerEU: 27
; NumVGPRsForWavesPerEU: 24
; NamedBarCnt: 0
; Occupancy: 16
; WaveLimiterHint : 0
; COMPUTE_PGM_RSRC2:SCRATCH_EN: 0
; COMPUTE_PGM_RSRC2:USER_SGPR: 2
; COMPUTE_PGM_RSRC2:TRAP_HANDLER: 0
; COMPUTE_PGM_RSRC2:TGID_X_EN: 1
; COMPUTE_PGM_RSRC2:TGID_Y_EN: 0
; COMPUTE_PGM_RSRC2:TGID_Z_EN: 0
; COMPUTE_PGM_RSRC2:TIDIG_COMP_CNT: 0
	.section	.text._ZN9rocsparseL23check_matrix_csr_deviceILj256ELj8EfllEEvT3_S1_T2_PKT1_PKS2_PKS1_S9_21rocsparse_index_base_22rocsparse_matrix_type_20rocsparse_fill_mode_23rocsparse_storage_mode_P22rocsparse_data_status_,"axG",@progbits,_ZN9rocsparseL23check_matrix_csr_deviceILj256ELj8EfllEEvT3_S1_T2_PKT1_PKS2_PKS1_S9_21rocsparse_index_base_22rocsparse_matrix_type_20rocsparse_fill_mode_23rocsparse_storage_mode_P22rocsparse_data_status_,comdat
	.globl	_ZN9rocsparseL23check_matrix_csr_deviceILj256ELj8EfllEEvT3_S1_T2_PKT1_PKS2_PKS1_S9_21rocsparse_index_base_22rocsparse_matrix_type_20rocsparse_fill_mode_23rocsparse_storage_mode_P22rocsparse_data_status_ ; -- Begin function _ZN9rocsparseL23check_matrix_csr_deviceILj256ELj8EfllEEvT3_S1_T2_PKT1_PKS2_PKS1_S9_21rocsparse_index_base_22rocsparse_matrix_type_20rocsparse_fill_mode_23rocsparse_storage_mode_P22rocsparse_data_status_
	.p2align	8
	.type	_ZN9rocsparseL23check_matrix_csr_deviceILj256ELj8EfllEEvT3_S1_T2_PKT1_PKS2_PKS1_S9_21rocsparse_index_base_22rocsparse_matrix_type_20rocsparse_fill_mode_23rocsparse_storage_mode_P22rocsparse_data_status_,@function
_ZN9rocsparseL23check_matrix_csr_deviceILj256ELj8EfllEEvT3_S1_T2_PKT1_PKS2_PKS1_S9_21rocsparse_index_base_22rocsparse_matrix_type_20rocsparse_fill_mode_23rocsparse_storage_mode_P22rocsparse_data_status_: ; @_ZN9rocsparseL23check_matrix_csr_deviceILj256ELj8EfllEEvT3_S1_T2_PKT1_PKS2_PKS1_S9_21rocsparse_index_base_22rocsparse_matrix_type_20rocsparse_fill_mode_23rocsparse_storage_mode_P22rocsparse_data_status_
; %bb.0:
	s_bfe_u32 s2, ttmp6, 0x4000c
	s_load_b128 s[4:7], s[0:1], 0x0
	s_add_co_i32 s2, s2, 1
	s_and_b32 s3, ttmp6, 15
	s_mul_i32 s2, ttmp9, s2
	s_getreg_b32 s8, hwreg(HW_REG_IB_STS2, 6, 4)
	s_add_co_i32 s3, s3, s2
	s_cmp_eq_u32 s8, 0
	v_mov_b32_e32 v3, 0
	s_cselect_b32 s2, ttmp9, s3
	s_delay_alu instid0(SALU_CYCLE_1) | instskip(SKIP_1) | instid1(VALU_DEP_1)
	v_lshl_or_b32 v1, s2, 8, v0
	s_mov_b32 s2, exec_lo
	v_lshrrev_b32_e32 v2, 3, v1
	s_wait_kmcnt 0x0
	s_delay_alu instid0(VALU_DEP_1)
	v_cmpx_gt_i64_e64 s[4:5], v[2:3]
	s_cbranch_execz .LBB63_31
; %bb.1:
	s_load_b64 s[2:3], s[0:1], 0x20
	v_dual_mov_b32 v18, 3 :: v_dual_lshlrev_b32 v1, 3, v2
	s_wait_kmcnt 0x0
	global_load_b128 v[8:11], v1, s[2:3]
	s_wait_xcnt 0x0
	s_load_b64 s[2:3], s[2:3], 0x0
	s_wait_loadcnt 0x0
	s_wait_kmcnt 0x0
	v_sub_nc_u64_e64 v[4:5], v[10:11], s[2:3]
	v_sub_nc_u64_e64 v[6:7], v[8:9], s[2:3]
	v_cmp_lt_i64_e64 s2, v[10:11], v[8:9]
	s_delay_alu instid0(VALU_DEP_3) | instskip(NEXT) | instid1(VALU_DEP_3)
	v_cmp_gt_i64_e32 vcc_lo, 0, v[4:5]
	v_cmp_lt_i64_e64 s3, -1, v[6:7]
	s_or_b32 s2, vcc_lo, s2
	s_delay_alu instid0(SALU_CYCLE_1) | instskip(SKIP_2) | instid1(SALU_CYCLE_1)
	s_xor_b32 s4, s2, -1
	s_mov_b32 s2, -1
	s_and_b32 s3, s3, s4
	s_and_saveexec_b32 s8, s3
	s_cbranch_execz .LBB63_29
; %bb.2:
	v_dual_mov_b32 v1, 0 :: v_dual_bitop2_b32 v0, 7, v0 bitop3:0x40
	v_mov_b32_e32 v18, 3
	s_mov_b32 s2, 0
	s_mov_b32 s9, exec_lo
	s_delay_alu instid0(VALU_DEP_2) | instskip(NEXT) | instid1(VALU_DEP_1)
	v_add_nc_u64_e32 v[0:1], v[6:7], v[0:1]
	v_cmpx_lt_u64_e64 v[0:1], v[4:5]
	s_cbranch_execz .LBB63_28
; %bb.3:
	s_clause 0x1
	s_load_b256 s[12:19], s[0:1], 0x28
	s_load_b64 s[2:3], s[0:1], 0x18
	v_lshlrev_b64_e32 v[10:11], 3, v[0:1]
	s_mov_b32 s5, 0
	s_wait_kmcnt 0x0
	s_delay_alu instid0(VALU_DEP_1)
	v_add_nc_u64_e32 v[8:9], s[14:15], v[10:11]
	s_cmp_lg_u32 s17, 0
	v_add_nc_u64_e32 v[10:11], s[12:13], v[10:11]
	s_cselect_b32 s10, -1, 0
	s_cmp_lg_u32 s18, 0
	v_lshl_add_u64 v[12:13], v[0:1], 2, s[2:3]
	s_cselect_b32 s11, -1, 0
	v_add_nc_u64_e32 v[8:9], -8, v[8:9]
	s_cmp_lg_u32 s19, 0
	s_mov_b32 s4, s16
	s_cselect_b32 s12, -1, 0
	s_mov_b32 s13, s5
                                        ; implicit-def: $sgpr14
                                        ; implicit-def: $sgpr15
                                        ; implicit-def: $sgpr16
	s_branch .LBB63_10
.LBB63_4:                               ;   in Loop: Header=BB63_10 Depth=1
	s_or_b32 exec_lo, exec_lo, s3
	s_delay_alu instid0(SALU_CYCLE_1)
	s_or_not1_b32 s24, s2, exec_lo
	s_or_not1_b32 s2, s21, exec_lo
.LBB63_5:                               ;   in Loop: Header=BB63_10 Depth=1
	s_or_b32 exec_lo, exec_lo, s22
	s_delay_alu instid0(SALU_CYCLE_1)
	s_or_not1_b32 s3, s24, exec_lo
	s_or_not1_b32 s2, s2, exec_lo
.LBB63_6:                               ;   in Loop: Header=BB63_10 Depth=1
	s_or_b32 exec_lo, exec_lo, s20
	s_delay_alu instid0(SALU_CYCLE_1)
	s_or_not1_b32 s3, s3, exec_lo
	s_or_not1_b32 s2, s2, exec_lo
.LBB63_7:                               ;   in Loop: Header=BB63_10 Depth=1
	s_or_b32 exec_lo, exec_lo, s19
	s_delay_alu instid0(SALU_CYCLE_1)
	s_or_not1_b32 s3, s3, exec_lo
	s_or_not1_b32 s2, s2, exec_lo
.LBB63_8:                               ;   in Loop: Header=BB63_10 Depth=1
	s_or_b32 exec_lo, exec_lo, s18
	s_delay_alu instid0(SALU_CYCLE_1)
	s_and_not1_b32 s16, s16, exec_lo
	s_and_b32 s3, s3, exec_lo
	s_and_not1_b32 s15, s15, exec_lo
	s_and_b32 s2, s2, exec_lo
	s_or_b32 s16, s16, s3
	s_or_b32 s15, s15, s2
.LBB63_9:                               ;   in Loop: Header=BB63_10 Depth=1
	s_or_b32 exec_lo, exec_lo, s17
	s_delay_alu instid0(SALU_CYCLE_1) | instskip(NEXT) | instid1(SALU_CYCLE_1)
	s_and_b32 s2, exec_lo, s15
	s_or_b32 s13, s2, s13
	s_and_not1_b32 s2, s14, exec_lo
	s_and_b32 s3, s16, exec_lo
	s_delay_alu instid0(SALU_CYCLE_1)
	s_or_b32 s14, s2, s3
	s_and_not1_b32 exec_lo, exec_lo, s13
	s_cbranch_execz .LBB63_27
.LBB63_10:                              ; =>This Inner Loop Header: Depth=1
	global_load_b64 v[14:15], v[10:11], off
	v_mov_b32_e32 v18, 4
	s_or_b32 s16, s16, exec_lo
	s_or_b32 s15, s15, exec_lo
	s_wait_loadcnt 0x0
	v_sub_nc_u64_e64 v[16:17], v[14:15], s[4:5]
	s_delay_alu instid0(VALU_DEP_1) | instskip(SKIP_2) | instid1(SALU_CYCLE_1)
	v_cmp_lt_i64_e32 vcc_lo, -1, v[16:17]
	v_cmp_gt_i64_e64 s2, s[6:7], v[16:17]
	s_and_b32 s2, vcc_lo, s2
	s_and_saveexec_b32 s17, s2
	s_cbranch_execz .LBB63_9
; %bb.11:                               ;   in Loop: Header=BB63_10 Depth=1
	v_cmp_le_i64_e64 s21, v[0:1], v[6:7]
	v_mov_b32_e32 v18, 4
	s_mov_b32 s18, exec_lo
	s_mov_b32 s19, s21
	v_cmpx_gt_i64_e64 v[0:1], v[6:7]
	s_cbranch_execz .LBB63_13
; %bb.12:                               ;   in Loop: Header=BB63_10 Depth=1
	global_load_b128 v[18:21], v[8:9], off
	s_wait_loadcnt 0x0
	v_sub_nc_u64_e64 v[22:23], v[18:19], s[4:5]
	v_cmp_ne_u64_e64 s3, v[20:21], v[18:19]
	v_mov_b32_e32 v18, 5
	s_delay_alu instid0(VALU_DEP_3) | instskip(SKIP_2) | instid1(SALU_CYCLE_1)
	v_cmp_lt_i64_e32 vcc_lo, -1, v[22:23]
	v_cmp_gt_i64_e64 s2, s[6:7], v[22:23]
	s_and_b32 s2, vcc_lo, s2
	s_xor_b32 s2, s2, -1
	s_delay_alu instid0(SALU_CYCLE_1) | instskip(SKIP_2) | instid1(SALU_CYCLE_1)
	s_or_b32 s2, s3, s2
	s_and_not1_b32 s3, s21, exec_lo
	s_and_b32 s2, s2, exec_lo
	s_or_b32 s19, s3, s2
.LBB63_13:                              ;   in Loop: Header=BB63_10 Depth=1
	s_or_b32 exec_lo, exec_lo, s18
	s_mov_b32 s2, -1
	s_mov_b32 s3, -1
	s_and_saveexec_b32 s18, s19
	s_cbranch_execz .LBB63_8
; %bb.14:                               ;   in Loop: Header=BB63_10 Depth=1
	global_load_b32 v19, v[12:13], off
	v_mov_b32_e32 v18, 1
	s_mov_b32 s19, exec_lo
	s_wait_loadcnt 0x0
	v_cmpx_neq_f32_e32 0x7f800000, v19
	s_cbranch_execz .LBB63_7
; %bb.15:                               ;   in Loop: Header=BB63_10 Depth=1
	v_mov_b32_e32 v18, 2
	s_mov_b32 s20, exec_lo
	v_cmpx_o_f32_e32 v19, v19
	s_cbranch_execz .LBB63_6
; %bb.16:                               ;   in Loop: Header=BB63_10 Depth=1
	s_and_b32 vcc_lo, exec_lo, s10
	s_cbranch_vccz .LBB63_19
; %bb.17:                               ;   in Loop: Header=BB63_10 Depth=1
	s_and_b32 vcc_lo, exec_lo, s11
	s_cbranch_vccz .LBB63_20
; %bb.18:                               ;   in Loop: Header=BB63_10 Depth=1
	v_cmp_ge_i64_e32 vcc_lo, v[16:17], v[2:3]
	s_mov_b32 s3, 7
	s_and_b32 s23, vcc_lo, exec_lo
	s_cbranch_execz .LBB63_21
	s_branch .LBB63_22
.LBB63_19:                              ;   in Loop: Header=BB63_10 Depth=1
	s_mov_b32 s3, 2
	s_mov_b32 s23, -1
	s_branch .LBB63_22
.LBB63_20:                              ;   in Loop: Header=BB63_10 Depth=1
	s_mov_b32 s23, 0
	s_mov_b32 s3, 2
.LBB63_21:                              ;   in Loop: Header=BB63_10 Depth=1
	v_cmp_le_i64_e32 vcc_lo, v[16:17], v[2:3]
	s_and_not1_b32 s22, s23, exec_lo
	s_mov_b32 s3, 7
	s_and_b32 s23, vcc_lo, exec_lo
	s_delay_alu instid0(SALU_CYCLE_1)
	s_or_b32 s23, s22, s23
.LBB63_22:                              ;   in Loop: Header=BB63_10 Depth=1
	v_mov_b32_e32 v18, s3
	s_mov_b32 s24, -1
	s_and_saveexec_b32 s22, s23
	s_cbranch_execz .LBB63_5
; %bb.23:                               ;   in Loop: Header=BB63_10 Depth=1
	v_mov_b32_e32 v18, s3
	s_nor_b32 s2, s12, s21
	s_mov_b32 s21, -1
	s_and_saveexec_b32 s23, s2
	s_cbranch_execz .LBB63_25
; %bb.24:                               ;   in Loop: Header=BB63_10 Depth=1
	global_load_b64 v[16:17], v[10:11], off offset:-8
	s_wait_loadcnt 0x0
	v_sub_nc_u64_e64 v[18:19], v[16:17], s[4:5]
	v_cmp_gt_i64_e64 s3, v[14:15], v[16:17]
	s_delay_alu instid0(VALU_DEP_2) | instskip(SKIP_3) | instid1(SALU_CYCLE_1)
	v_cmp_lt_i64_e32 vcc_lo, -1, v[18:19]
	v_cmp_gt_i64_e64 s2, s[6:7], v[18:19]
	v_mov_b32_e32 v18, 6
	s_and_b32 s2, vcc_lo, s2
	s_xor_b32 s2, s2, -1
	s_delay_alu instid0(SALU_CYCLE_1) | instskip(NEXT) | instid1(SALU_CYCLE_1)
	s_or_b32 s2, s3, s2
	s_or_not1_b32 s24, s2, exec_lo
.LBB63_25:                              ;   in Loop: Header=BB63_10 Depth=1
	s_or_b32 exec_lo, exec_lo, s23
	s_mov_b32 s2, -1
	s_and_saveexec_b32 s3, s24
	s_cbranch_execz .LBB63_4
; %bb.26:                               ;   in Loop: Header=BB63_10 Depth=1
	v_add_nc_u64_e32 v[0:1], 8, v[0:1]
	v_add_nc_u64_e32 v[8:9], 64, v[8:9]
	;; [unrolled: 1-line block ×4, first 2 shown]
	s_xor_b32 s2, exec_lo, -1
	s_delay_alu instid0(VALU_DEP_4)
	v_cmp_ge_i64_e32 vcc_lo, v[0:1], v[4:5]
	s_or_not1_b32 s21, vcc_lo, exec_lo
	s_branch .LBB63_4
.LBB63_27:
	s_or_b32 exec_lo, exec_lo, s13
	s_delay_alu instid0(SALU_CYCLE_1)
	s_and_b32 s2, s14, exec_lo
.LBB63_28:
	s_or_b32 exec_lo, exec_lo, s9
	s_delay_alu instid0(SALU_CYCLE_1)
	s_or_not1_b32 s2, s2, exec_lo
.LBB63_29:
	s_or_b32 exec_lo, exec_lo, s8
	s_delay_alu instid0(SALU_CYCLE_1)
	s_and_b32 exec_lo, exec_lo, s2
	s_cbranch_execz .LBB63_31
; %bb.30:
	s_load_b64 s[0:1], s[0:1], 0x48
	v_mov_b32_e32 v0, 0
	s_wait_kmcnt 0x0
	global_store_b32 v0, v18, s[0:1]
.LBB63_31:
	s_endpgm
	.section	.rodata,"a",@progbits
	.p2align	6, 0x0
	.amdhsa_kernel _ZN9rocsparseL23check_matrix_csr_deviceILj256ELj8EfllEEvT3_S1_T2_PKT1_PKS2_PKS1_S9_21rocsparse_index_base_22rocsparse_matrix_type_20rocsparse_fill_mode_23rocsparse_storage_mode_P22rocsparse_data_status_
		.amdhsa_group_segment_fixed_size 0
		.amdhsa_private_segment_fixed_size 0
		.amdhsa_kernarg_size 80
		.amdhsa_user_sgpr_count 2
		.amdhsa_user_sgpr_dispatch_ptr 0
		.amdhsa_user_sgpr_queue_ptr 0
		.amdhsa_user_sgpr_kernarg_segment_ptr 1
		.amdhsa_user_sgpr_dispatch_id 0
		.amdhsa_user_sgpr_kernarg_preload_length 0
		.amdhsa_user_sgpr_kernarg_preload_offset 0
		.amdhsa_user_sgpr_private_segment_size 0
		.amdhsa_wavefront_size32 1
		.amdhsa_uses_dynamic_stack 0
		.amdhsa_enable_private_segment 0
		.amdhsa_system_sgpr_workgroup_id_x 1
		.amdhsa_system_sgpr_workgroup_id_y 0
		.amdhsa_system_sgpr_workgroup_id_z 0
		.amdhsa_system_sgpr_workgroup_info 0
		.amdhsa_system_vgpr_workitem_id 0
		.amdhsa_next_free_vgpr 24
		.amdhsa_next_free_sgpr 25
		.amdhsa_named_barrier_count 0
		.amdhsa_reserve_vcc 1
		.amdhsa_float_round_mode_32 0
		.amdhsa_float_round_mode_16_64 0
		.amdhsa_float_denorm_mode_32 3
		.amdhsa_float_denorm_mode_16_64 3
		.amdhsa_fp16_overflow 0
		.amdhsa_memory_ordered 1
		.amdhsa_forward_progress 1
		.amdhsa_inst_pref_size 9
		.amdhsa_round_robin_scheduling 0
		.amdhsa_exception_fp_ieee_invalid_op 0
		.amdhsa_exception_fp_denorm_src 0
		.amdhsa_exception_fp_ieee_div_zero 0
		.amdhsa_exception_fp_ieee_overflow 0
		.amdhsa_exception_fp_ieee_underflow 0
		.amdhsa_exception_fp_ieee_inexact 0
		.amdhsa_exception_int_div_zero 0
	.end_amdhsa_kernel
	.section	.text._ZN9rocsparseL23check_matrix_csr_deviceILj256ELj8EfllEEvT3_S1_T2_PKT1_PKS2_PKS1_S9_21rocsparse_index_base_22rocsparse_matrix_type_20rocsparse_fill_mode_23rocsparse_storage_mode_P22rocsparse_data_status_,"axG",@progbits,_ZN9rocsparseL23check_matrix_csr_deviceILj256ELj8EfllEEvT3_S1_T2_PKT1_PKS2_PKS1_S9_21rocsparse_index_base_22rocsparse_matrix_type_20rocsparse_fill_mode_23rocsparse_storage_mode_P22rocsparse_data_status_,comdat
.Lfunc_end63:
	.size	_ZN9rocsparseL23check_matrix_csr_deviceILj256ELj8EfllEEvT3_S1_T2_PKT1_PKS2_PKS1_S9_21rocsparse_index_base_22rocsparse_matrix_type_20rocsparse_fill_mode_23rocsparse_storage_mode_P22rocsparse_data_status_, .Lfunc_end63-_ZN9rocsparseL23check_matrix_csr_deviceILj256ELj8EfllEEvT3_S1_T2_PKT1_PKS2_PKS1_S9_21rocsparse_index_base_22rocsparse_matrix_type_20rocsparse_fill_mode_23rocsparse_storage_mode_P22rocsparse_data_status_
                                        ; -- End function
	.set _ZN9rocsparseL23check_matrix_csr_deviceILj256ELj8EfllEEvT3_S1_T2_PKT1_PKS2_PKS1_S9_21rocsparse_index_base_22rocsparse_matrix_type_20rocsparse_fill_mode_23rocsparse_storage_mode_P22rocsparse_data_status_.num_vgpr, 24
	.set _ZN9rocsparseL23check_matrix_csr_deviceILj256ELj8EfllEEvT3_S1_T2_PKT1_PKS2_PKS1_S9_21rocsparse_index_base_22rocsparse_matrix_type_20rocsparse_fill_mode_23rocsparse_storage_mode_P22rocsparse_data_status_.num_agpr, 0
	.set _ZN9rocsparseL23check_matrix_csr_deviceILj256ELj8EfllEEvT3_S1_T2_PKT1_PKS2_PKS1_S9_21rocsparse_index_base_22rocsparse_matrix_type_20rocsparse_fill_mode_23rocsparse_storage_mode_P22rocsparse_data_status_.numbered_sgpr, 25
	.set _ZN9rocsparseL23check_matrix_csr_deviceILj256ELj8EfllEEvT3_S1_T2_PKT1_PKS2_PKS1_S9_21rocsparse_index_base_22rocsparse_matrix_type_20rocsparse_fill_mode_23rocsparse_storage_mode_P22rocsparse_data_status_.num_named_barrier, 0
	.set _ZN9rocsparseL23check_matrix_csr_deviceILj256ELj8EfllEEvT3_S1_T2_PKT1_PKS2_PKS1_S9_21rocsparse_index_base_22rocsparse_matrix_type_20rocsparse_fill_mode_23rocsparse_storage_mode_P22rocsparse_data_status_.private_seg_size, 0
	.set _ZN9rocsparseL23check_matrix_csr_deviceILj256ELj8EfllEEvT3_S1_T2_PKT1_PKS2_PKS1_S9_21rocsparse_index_base_22rocsparse_matrix_type_20rocsparse_fill_mode_23rocsparse_storage_mode_P22rocsparse_data_status_.uses_vcc, 1
	.set _ZN9rocsparseL23check_matrix_csr_deviceILj256ELj8EfllEEvT3_S1_T2_PKT1_PKS2_PKS1_S9_21rocsparse_index_base_22rocsparse_matrix_type_20rocsparse_fill_mode_23rocsparse_storage_mode_P22rocsparse_data_status_.uses_flat_scratch, 0
	.set _ZN9rocsparseL23check_matrix_csr_deviceILj256ELj8EfllEEvT3_S1_T2_PKT1_PKS2_PKS1_S9_21rocsparse_index_base_22rocsparse_matrix_type_20rocsparse_fill_mode_23rocsparse_storage_mode_P22rocsparse_data_status_.has_dyn_sized_stack, 0
	.set _ZN9rocsparseL23check_matrix_csr_deviceILj256ELj8EfllEEvT3_S1_T2_PKT1_PKS2_PKS1_S9_21rocsparse_index_base_22rocsparse_matrix_type_20rocsparse_fill_mode_23rocsparse_storage_mode_P22rocsparse_data_status_.has_recursion, 0
	.set _ZN9rocsparseL23check_matrix_csr_deviceILj256ELj8EfllEEvT3_S1_T2_PKT1_PKS2_PKS1_S9_21rocsparse_index_base_22rocsparse_matrix_type_20rocsparse_fill_mode_23rocsparse_storage_mode_P22rocsparse_data_status_.has_indirect_call, 0
	.section	.AMDGPU.csdata,"",@progbits
; Kernel info:
; codeLenInByte = 1040
; TotalNumSgprs: 27
; NumVgprs: 24
; ScratchSize: 0
; MemoryBound: 0
; FloatMode: 240
; IeeeMode: 1
; LDSByteSize: 0 bytes/workgroup (compile time only)
; SGPRBlocks: 0
; VGPRBlocks: 1
; NumSGPRsForWavesPerEU: 27
; NumVGPRsForWavesPerEU: 24
; NamedBarCnt: 0
; Occupancy: 16
; WaveLimiterHint : 0
; COMPUTE_PGM_RSRC2:SCRATCH_EN: 0
; COMPUTE_PGM_RSRC2:USER_SGPR: 2
; COMPUTE_PGM_RSRC2:TRAP_HANDLER: 0
; COMPUTE_PGM_RSRC2:TGID_X_EN: 1
; COMPUTE_PGM_RSRC2:TGID_Y_EN: 0
; COMPUTE_PGM_RSRC2:TGID_Z_EN: 0
; COMPUTE_PGM_RSRC2:TIDIG_COMP_CNT: 0
	.section	.text._ZN9rocsparseL23check_matrix_csr_deviceILj256ELj16EfllEEvT3_S1_T2_PKT1_PKS2_PKS1_S9_21rocsparse_index_base_22rocsparse_matrix_type_20rocsparse_fill_mode_23rocsparse_storage_mode_P22rocsparse_data_status_,"axG",@progbits,_ZN9rocsparseL23check_matrix_csr_deviceILj256ELj16EfllEEvT3_S1_T2_PKT1_PKS2_PKS1_S9_21rocsparse_index_base_22rocsparse_matrix_type_20rocsparse_fill_mode_23rocsparse_storage_mode_P22rocsparse_data_status_,comdat
	.globl	_ZN9rocsparseL23check_matrix_csr_deviceILj256ELj16EfllEEvT3_S1_T2_PKT1_PKS2_PKS1_S9_21rocsparse_index_base_22rocsparse_matrix_type_20rocsparse_fill_mode_23rocsparse_storage_mode_P22rocsparse_data_status_ ; -- Begin function _ZN9rocsparseL23check_matrix_csr_deviceILj256ELj16EfllEEvT3_S1_T2_PKT1_PKS2_PKS1_S9_21rocsparse_index_base_22rocsparse_matrix_type_20rocsparse_fill_mode_23rocsparse_storage_mode_P22rocsparse_data_status_
	.p2align	8
	.type	_ZN9rocsparseL23check_matrix_csr_deviceILj256ELj16EfllEEvT3_S1_T2_PKT1_PKS2_PKS1_S9_21rocsparse_index_base_22rocsparse_matrix_type_20rocsparse_fill_mode_23rocsparse_storage_mode_P22rocsparse_data_status_,@function
_ZN9rocsparseL23check_matrix_csr_deviceILj256ELj16EfllEEvT3_S1_T2_PKT1_PKS2_PKS1_S9_21rocsparse_index_base_22rocsparse_matrix_type_20rocsparse_fill_mode_23rocsparse_storage_mode_P22rocsparse_data_status_: ; @_ZN9rocsparseL23check_matrix_csr_deviceILj256ELj16EfllEEvT3_S1_T2_PKT1_PKS2_PKS1_S9_21rocsparse_index_base_22rocsparse_matrix_type_20rocsparse_fill_mode_23rocsparse_storage_mode_P22rocsparse_data_status_
; %bb.0:
	s_bfe_u32 s2, ttmp6, 0x4000c
	s_load_b128 s[4:7], s[0:1], 0x0
	s_add_co_i32 s2, s2, 1
	s_and_b32 s3, ttmp6, 15
	s_mul_i32 s2, ttmp9, s2
	s_getreg_b32 s8, hwreg(HW_REG_IB_STS2, 6, 4)
	s_add_co_i32 s3, s3, s2
	s_cmp_eq_u32 s8, 0
	v_mov_b32_e32 v3, 0
	s_cselect_b32 s2, ttmp9, s3
	s_delay_alu instid0(SALU_CYCLE_1) | instskip(SKIP_1) | instid1(VALU_DEP_1)
	v_lshl_or_b32 v1, s2, 8, v0
	s_mov_b32 s2, exec_lo
	v_lshrrev_b32_e32 v2, 4, v1
	s_wait_kmcnt 0x0
	s_delay_alu instid0(VALU_DEP_1)
	v_cmpx_gt_i64_e64 s[4:5], v[2:3]
	s_cbranch_execz .LBB64_31
; %bb.1:
	s_load_b64 s[2:3], s[0:1], 0x20
	v_dual_mov_b32 v18, 3 :: v_dual_lshlrev_b32 v1, 3, v2
	s_wait_kmcnt 0x0
	global_load_b128 v[8:11], v1, s[2:3]
	s_wait_xcnt 0x0
	s_load_b64 s[2:3], s[2:3], 0x0
	s_wait_loadcnt 0x0
	s_wait_kmcnt 0x0
	v_sub_nc_u64_e64 v[4:5], v[10:11], s[2:3]
	v_sub_nc_u64_e64 v[6:7], v[8:9], s[2:3]
	v_cmp_lt_i64_e64 s2, v[10:11], v[8:9]
	s_delay_alu instid0(VALU_DEP_3) | instskip(NEXT) | instid1(VALU_DEP_3)
	v_cmp_gt_i64_e32 vcc_lo, 0, v[4:5]
	v_cmp_lt_i64_e64 s3, -1, v[6:7]
	s_or_b32 s2, vcc_lo, s2
	s_delay_alu instid0(SALU_CYCLE_1) | instskip(SKIP_2) | instid1(SALU_CYCLE_1)
	s_xor_b32 s4, s2, -1
	s_mov_b32 s2, -1
	s_and_b32 s3, s3, s4
	s_and_saveexec_b32 s8, s3
	s_cbranch_execz .LBB64_29
; %bb.2:
	v_dual_mov_b32 v1, 0 :: v_dual_bitop2_b32 v0, 15, v0 bitop3:0x40
	v_mov_b32_e32 v18, 3
	s_mov_b32 s2, 0
	s_mov_b32 s9, exec_lo
	s_delay_alu instid0(VALU_DEP_2) | instskip(NEXT) | instid1(VALU_DEP_1)
	v_add_nc_u64_e32 v[0:1], v[6:7], v[0:1]
	v_cmpx_lt_u64_e64 v[0:1], v[4:5]
	s_cbranch_execz .LBB64_28
; %bb.3:
	s_clause 0x1
	s_load_b256 s[12:19], s[0:1], 0x28
	s_load_b64 s[2:3], s[0:1], 0x18
	v_lshlrev_b64_e32 v[10:11], 3, v[0:1]
	s_mov_b32 s5, 0
	s_wait_kmcnt 0x0
	s_delay_alu instid0(VALU_DEP_1)
	v_add_nc_u64_e32 v[8:9], s[14:15], v[10:11]
	s_cmp_lg_u32 s17, 0
	v_add_nc_u64_e32 v[10:11], s[12:13], v[10:11]
	s_cselect_b32 s10, -1, 0
	s_cmp_lg_u32 s18, 0
	v_lshl_add_u64 v[12:13], v[0:1], 2, s[2:3]
	s_cselect_b32 s11, -1, 0
	v_add_nc_u64_e32 v[8:9], -8, v[8:9]
	s_cmp_lg_u32 s19, 0
	s_mov_b32 s4, s16
	s_cselect_b32 s12, -1, 0
	s_mov_b32 s13, s5
                                        ; implicit-def: $sgpr14
                                        ; implicit-def: $sgpr15
                                        ; implicit-def: $sgpr16
	s_branch .LBB64_10
.LBB64_4:                               ;   in Loop: Header=BB64_10 Depth=1
	s_or_b32 exec_lo, exec_lo, s3
	s_delay_alu instid0(SALU_CYCLE_1)
	s_or_not1_b32 s24, s2, exec_lo
	s_or_not1_b32 s2, s21, exec_lo
.LBB64_5:                               ;   in Loop: Header=BB64_10 Depth=1
	s_or_b32 exec_lo, exec_lo, s22
	s_delay_alu instid0(SALU_CYCLE_1)
	s_or_not1_b32 s3, s24, exec_lo
	s_or_not1_b32 s2, s2, exec_lo
.LBB64_6:                               ;   in Loop: Header=BB64_10 Depth=1
	s_or_b32 exec_lo, exec_lo, s20
	s_delay_alu instid0(SALU_CYCLE_1)
	s_or_not1_b32 s3, s3, exec_lo
	s_or_not1_b32 s2, s2, exec_lo
.LBB64_7:                               ;   in Loop: Header=BB64_10 Depth=1
	s_or_b32 exec_lo, exec_lo, s19
	s_delay_alu instid0(SALU_CYCLE_1)
	s_or_not1_b32 s3, s3, exec_lo
	s_or_not1_b32 s2, s2, exec_lo
.LBB64_8:                               ;   in Loop: Header=BB64_10 Depth=1
	s_or_b32 exec_lo, exec_lo, s18
	s_delay_alu instid0(SALU_CYCLE_1)
	s_and_not1_b32 s16, s16, exec_lo
	s_and_b32 s3, s3, exec_lo
	s_and_not1_b32 s15, s15, exec_lo
	s_and_b32 s2, s2, exec_lo
	s_or_b32 s16, s16, s3
	s_or_b32 s15, s15, s2
.LBB64_9:                               ;   in Loop: Header=BB64_10 Depth=1
	s_or_b32 exec_lo, exec_lo, s17
	s_delay_alu instid0(SALU_CYCLE_1) | instskip(NEXT) | instid1(SALU_CYCLE_1)
	s_and_b32 s2, exec_lo, s15
	s_or_b32 s13, s2, s13
	s_and_not1_b32 s2, s14, exec_lo
	s_and_b32 s3, s16, exec_lo
	s_delay_alu instid0(SALU_CYCLE_1)
	s_or_b32 s14, s2, s3
	s_and_not1_b32 exec_lo, exec_lo, s13
	s_cbranch_execz .LBB64_27
.LBB64_10:                              ; =>This Inner Loop Header: Depth=1
	global_load_b64 v[14:15], v[10:11], off
	v_mov_b32_e32 v18, 4
	s_or_b32 s16, s16, exec_lo
	s_or_b32 s15, s15, exec_lo
	s_wait_loadcnt 0x0
	v_sub_nc_u64_e64 v[16:17], v[14:15], s[4:5]
	s_delay_alu instid0(VALU_DEP_1) | instskip(SKIP_2) | instid1(SALU_CYCLE_1)
	v_cmp_lt_i64_e32 vcc_lo, -1, v[16:17]
	v_cmp_gt_i64_e64 s2, s[6:7], v[16:17]
	s_and_b32 s2, vcc_lo, s2
	s_and_saveexec_b32 s17, s2
	s_cbranch_execz .LBB64_9
; %bb.11:                               ;   in Loop: Header=BB64_10 Depth=1
	v_cmp_le_i64_e64 s21, v[0:1], v[6:7]
	v_mov_b32_e32 v18, 4
	s_mov_b32 s18, exec_lo
	s_mov_b32 s19, s21
	v_cmpx_gt_i64_e64 v[0:1], v[6:7]
	s_cbranch_execz .LBB64_13
; %bb.12:                               ;   in Loop: Header=BB64_10 Depth=1
	global_load_b128 v[18:21], v[8:9], off
	s_wait_loadcnt 0x0
	v_sub_nc_u64_e64 v[22:23], v[18:19], s[4:5]
	v_cmp_ne_u64_e64 s3, v[20:21], v[18:19]
	v_mov_b32_e32 v18, 5
	s_delay_alu instid0(VALU_DEP_3) | instskip(SKIP_2) | instid1(SALU_CYCLE_1)
	v_cmp_lt_i64_e32 vcc_lo, -1, v[22:23]
	v_cmp_gt_i64_e64 s2, s[6:7], v[22:23]
	s_and_b32 s2, vcc_lo, s2
	s_xor_b32 s2, s2, -1
	s_delay_alu instid0(SALU_CYCLE_1) | instskip(SKIP_2) | instid1(SALU_CYCLE_1)
	s_or_b32 s2, s3, s2
	s_and_not1_b32 s3, s21, exec_lo
	s_and_b32 s2, s2, exec_lo
	s_or_b32 s19, s3, s2
.LBB64_13:                              ;   in Loop: Header=BB64_10 Depth=1
	s_or_b32 exec_lo, exec_lo, s18
	s_mov_b32 s2, -1
	s_mov_b32 s3, -1
	s_and_saveexec_b32 s18, s19
	s_cbranch_execz .LBB64_8
; %bb.14:                               ;   in Loop: Header=BB64_10 Depth=1
	global_load_b32 v19, v[12:13], off
	v_mov_b32_e32 v18, 1
	s_mov_b32 s19, exec_lo
	s_wait_loadcnt 0x0
	v_cmpx_neq_f32_e32 0x7f800000, v19
	s_cbranch_execz .LBB64_7
; %bb.15:                               ;   in Loop: Header=BB64_10 Depth=1
	v_mov_b32_e32 v18, 2
	s_mov_b32 s20, exec_lo
	v_cmpx_o_f32_e32 v19, v19
	s_cbranch_execz .LBB64_6
; %bb.16:                               ;   in Loop: Header=BB64_10 Depth=1
	s_and_b32 vcc_lo, exec_lo, s10
	s_cbranch_vccz .LBB64_19
; %bb.17:                               ;   in Loop: Header=BB64_10 Depth=1
	s_and_b32 vcc_lo, exec_lo, s11
	s_cbranch_vccz .LBB64_20
; %bb.18:                               ;   in Loop: Header=BB64_10 Depth=1
	v_cmp_ge_i64_e32 vcc_lo, v[16:17], v[2:3]
	s_mov_b32 s3, 7
	s_and_b32 s23, vcc_lo, exec_lo
	s_cbranch_execz .LBB64_21
	s_branch .LBB64_22
.LBB64_19:                              ;   in Loop: Header=BB64_10 Depth=1
	s_mov_b32 s3, 2
	s_mov_b32 s23, -1
	s_branch .LBB64_22
.LBB64_20:                              ;   in Loop: Header=BB64_10 Depth=1
	s_mov_b32 s23, 0
	s_mov_b32 s3, 2
.LBB64_21:                              ;   in Loop: Header=BB64_10 Depth=1
	v_cmp_le_i64_e32 vcc_lo, v[16:17], v[2:3]
	s_and_not1_b32 s22, s23, exec_lo
	s_mov_b32 s3, 7
	s_and_b32 s23, vcc_lo, exec_lo
	s_delay_alu instid0(SALU_CYCLE_1)
	s_or_b32 s23, s22, s23
.LBB64_22:                              ;   in Loop: Header=BB64_10 Depth=1
	v_mov_b32_e32 v18, s3
	s_mov_b32 s24, -1
	s_and_saveexec_b32 s22, s23
	s_cbranch_execz .LBB64_5
; %bb.23:                               ;   in Loop: Header=BB64_10 Depth=1
	v_mov_b32_e32 v18, s3
	s_nor_b32 s2, s12, s21
	s_mov_b32 s21, -1
	s_and_saveexec_b32 s23, s2
	s_cbranch_execz .LBB64_25
; %bb.24:                               ;   in Loop: Header=BB64_10 Depth=1
	global_load_b64 v[16:17], v[10:11], off offset:-8
	s_wait_loadcnt 0x0
	v_sub_nc_u64_e64 v[18:19], v[16:17], s[4:5]
	v_cmp_gt_i64_e64 s3, v[14:15], v[16:17]
	s_delay_alu instid0(VALU_DEP_2) | instskip(SKIP_3) | instid1(SALU_CYCLE_1)
	v_cmp_lt_i64_e32 vcc_lo, -1, v[18:19]
	v_cmp_gt_i64_e64 s2, s[6:7], v[18:19]
	v_mov_b32_e32 v18, 6
	s_and_b32 s2, vcc_lo, s2
	s_xor_b32 s2, s2, -1
	s_delay_alu instid0(SALU_CYCLE_1) | instskip(NEXT) | instid1(SALU_CYCLE_1)
	s_or_b32 s2, s3, s2
	s_or_not1_b32 s24, s2, exec_lo
.LBB64_25:                              ;   in Loop: Header=BB64_10 Depth=1
	s_or_b32 exec_lo, exec_lo, s23
	s_mov_b32 s2, -1
	s_and_saveexec_b32 s3, s24
	s_cbranch_execz .LBB64_4
; %bb.26:                               ;   in Loop: Header=BB64_10 Depth=1
	v_add_nc_u64_e32 v[0:1], 16, v[0:1]
	v_add_nc_u64_e32 v[8:9], 0x80, v[8:9]
	;; [unrolled: 1-line block ×4, first 2 shown]
	s_xor_b32 s2, exec_lo, -1
	s_delay_alu instid0(VALU_DEP_4)
	v_cmp_ge_i64_e32 vcc_lo, v[0:1], v[4:5]
	s_or_not1_b32 s21, vcc_lo, exec_lo
	s_branch .LBB64_4
.LBB64_27:
	s_or_b32 exec_lo, exec_lo, s13
	s_delay_alu instid0(SALU_CYCLE_1)
	s_and_b32 s2, s14, exec_lo
.LBB64_28:
	s_or_b32 exec_lo, exec_lo, s9
	s_delay_alu instid0(SALU_CYCLE_1)
	s_or_not1_b32 s2, s2, exec_lo
.LBB64_29:
	s_or_b32 exec_lo, exec_lo, s8
	s_delay_alu instid0(SALU_CYCLE_1)
	s_and_b32 exec_lo, exec_lo, s2
	s_cbranch_execz .LBB64_31
; %bb.30:
	s_load_b64 s[0:1], s[0:1], 0x48
	v_mov_b32_e32 v0, 0
	s_wait_kmcnt 0x0
	global_store_b32 v0, v18, s[0:1]
.LBB64_31:
	s_endpgm
	.section	.rodata,"a",@progbits
	.p2align	6, 0x0
	.amdhsa_kernel _ZN9rocsparseL23check_matrix_csr_deviceILj256ELj16EfllEEvT3_S1_T2_PKT1_PKS2_PKS1_S9_21rocsparse_index_base_22rocsparse_matrix_type_20rocsparse_fill_mode_23rocsparse_storage_mode_P22rocsparse_data_status_
		.amdhsa_group_segment_fixed_size 0
		.amdhsa_private_segment_fixed_size 0
		.amdhsa_kernarg_size 80
		.amdhsa_user_sgpr_count 2
		.amdhsa_user_sgpr_dispatch_ptr 0
		.amdhsa_user_sgpr_queue_ptr 0
		.amdhsa_user_sgpr_kernarg_segment_ptr 1
		.amdhsa_user_sgpr_dispatch_id 0
		.amdhsa_user_sgpr_kernarg_preload_length 0
		.amdhsa_user_sgpr_kernarg_preload_offset 0
		.amdhsa_user_sgpr_private_segment_size 0
		.amdhsa_wavefront_size32 1
		.amdhsa_uses_dynamic_stack 0
		.amdhsa_enable_private_segment 0
		.amdhsa_system_sgpr_workgroup_id_x 1
		.amdhsa_system_sgpr_workgroup_id_y 0
		.amdhsa_system_sgpr_workgroup_id_z 0
		.amdhsa_system_sgpr_workgroup_info 0
		.amdhsa_system_vgpr_workitem_id 0
		.amdhsa_next_free_vgpr 24
		.amdhsa_next_free_sgpr 25
		.amdhsa_named_barrier_count 0
		.amdhsa_reserve_vcc 1
		.amdhsa_float_round_mode_32 0
		.amdhsa_float_round_mode_16_64 0
		.amdhsa_float_denorm_mode_32 3
		.amdhsa_float_denorm_mode_16_64 3
		.amdhsa_fp16_overflow 0
		.amdhsa_memory_ordered 1
		.amdhsa_forward_progress 1
		.amdhsa_inst_pref_size 9
		.amdhsa_round_robin_scheduling 0
		.amdhsa_exception_fp_ieee_invalid_op 0
		.amdhsa_exception_fp_denorm_src 0
		.amdhsa_exception_fp_ieee_div_zero 0
		.amdhsa_exception_fp_ieee_overflow 0
		.amdhsa_exception_fp_ieee_underflow 0
		.amdhsa_exception_fp_ieee_inexact 0
		.amdhsa_exception_int_div_zero 0
	.end_amdhsa_kernel
	.section	.text._ZN9rocsparseL23check_matrix_csr_deviceILj256ELj16EfllEEvT3_S1_T2_PKT1_PKS2_PKS1_S9_21rocsparse_index_base_22rocsparse_matrix_type_20rocsparse_fill_mode_23rocsparse_storage_mode_P22rocsparse_data_status_,"axG",@progbits,_ZN9rocsparseL23check_matrix_csr_deviceILj256ELj16EfllEEvT3_S1_T2_PKT1_PKS2_PKS1_S9_21rocsparse_index_base_22rocsparse_matrix_type_20rocsparse_fill_mode_23rocsparse_storage_mode_P22rocsparse_data_status_,comdat
.Lfunc_end64:
	.size	_ZN9rocsparseL23check_matrix_csr_deviceILj256ELj16EfllEEvT3_S1_T2_PKT1_PKS2_PKS1_S9_21rocsparse_index_base_22rocsparse_matrix_type_20rocsparse_fill_mode_23rocsparse_storage_mode_P22rocsparse_data_status_, .Lfunc_end64-_ZN9rocsparseL23check_matrix_csr_deviceILj256ELj16EfllEEvT3_S1_T2_PKT1_PKS2_PKS1_S9_21rocsparse_index_base_22rocsparse_matrix_type_20rocsparse_fill_mode_23rocsparse_storage_mode_P22rocsparse_data_status_
                                        ; -- End function
	.set _ZN9rocsparseL23check_matrix_csr_deviceILj256ELj16EfllEEvT3_S1_T2_PKT1_PKS2_PKS1_S9_21rocsparse_index_base_22rocsparse_matrix_type_20rocsparse_fill_mode_23rocsparse_storage_mode_P22rocsparse_data_status_.num_vgpr, 24
	.set _ZN9rocsparseL23check_matrix_csr_deviceILj256ELj16EfllEEvT3_S1_T2_PKT1_PKS2_PKS1_S9_21rocsparse_index_base_22rocsparse_matrix_type_20rocsparse_fill_mode_23rocsparse_storage_mode_P22rocsparse_data_status_.num_agpr, 0
	.set _ZN9rocsparseL23check_matrix_csr_deviceILj256ELj16EfllEEvT3_S1_T2_PKT1_PKS2_PKS1_S9_21rocsparse_index_base_22rocsparse_matrix_type_20rocsparse_fill_mode_23rocsparse_storage_mode_P22rocsparse_data_status_.numbered_sgpr, 25
	.set _ZN9rocsparseL23check_matrix_csr_deviceILj256ELj16EfllEEvT3_S1_T2_PKT1_PKS2_PKS1_S9_21rocsparse_index_base_22rocsparse_matrix_type_20rocsparse_fill_mode_23rocsparse_storage_mode_P22rocsparse_data_status_.num_named_barrier, 0
	.set _ZN9rocsparseL23check_matrix_csr_deviceILj256ELj16EfllEEvT3_S1_T2_PKT1_PKS2_PKS1_S9_21rocsparse_index_base_22rocsparse_matrix_type_20rocsparse_fill_mode_23rocsparse_storage_mode_P22rocsparse_data_status_.private_seg_size, 0
	.set _ZN9rocsparseL23check_matrix_csr_deviceILj256ELj16EfllEEvT3_S1_T2_PKT1_PKS2_PKS1_S9_21rocsparse_index_base_22rocsparse_matrix_type_20rocsparse_fill_mode_23rocsparse_storage_mode_P22rocsparse_data_status_.uses_vcc, 1
	.set _ZN9rocsparseL23check_matrix_csr_deviceILj256ELj16EfllEEvT3_S1_T2_PKT1_PKS2_PKS1_S9_21rocsparse_index_base_22rocsparse_matrix_type_20rocsparse_fill_mode_23rocsparse_storage_mode_P22rocsparse_data_status_.uses_flat_scratch, 0
	.set _ZN9rocsparseL23check_matrix_csr_deviceILj256ELj16EfllEEvT3_S1_T2_PKT1_PKS2_PKS1_S9_21rocsparse_index_base_22rocsparse_matrix_type_20rocsparse_fill_mode_23rocsparse_storage_mode_P22rocsparse_data_status_.has_dyn_sized_stack, 0
	.set _ZN9rocsparseL23check_matrix_csr_deviceILj256ELj16EfllEEvT3_S1_T2_PKT1_PKS2_PKS1_S9_21rocsparse_index_base_22rocsparse_matrix_type_20rocsparse_fill_mode_23rocsparse_storage_mode_P22rocsparse_data_status_.has_recursion, 0
	.set _ZN9rocsparseL23check_matrix_csr_deviceILj256ELj16EfllEEvT3_S1_T2_PKT1_PKS2_PKS1_S9_21rocsparse_index_base_22rocsparse_matrix_type_20rocsparse_fill_mode_23rocsparse_storage_mode_P22rocsparse_data_status_.has_indirect_call, 0
	.section	.AMDGPU.csdata,"",@progbits
; Kernel info:
; codeLenInByte = 1048
; TotalNumSgprs: 27
; NumVgprs: 24
; ScratchSize: 0
; MemoryBound: 0
; FloatMode: 240
; IeeeMode: 1
; LDSByteSize: 0 bytes/workgroup (compile time only)
; SGPRBlocks: 0
; VGPRBlocks: 1
; NumSGPRsForWavesPerEU: 27
; NumVGPRsForWavesPerEU: 24
; NamedBarCnt: 0
; Occupancy: 16
; WaveLimiterHint : 0
; COMPUTE_PGM_RSRC2:SCRATCH_EN: 0
; COMPUTE_PGM_RSRC2:USER_SGPR: 2
; COMPUTE_PGM_RSRC2:TRAP_HANDLER: 0
; COMPUTE_PGM_RSRC2:TGID_X_EN: 1
; COMPUTE_PGM_RSRC2:TGID_Y_EN: 0
; COMPUTE_PGM_RSRC2:TGID_Z_EN: 0
; COMPUTE_PGM_RSRC2:TIDIG_COMP_CNT: 0
	.section	.text._ZN9rocsparseL23check_matrix_csr_deviceILj256ELj32EfllEEvT3_S1_T2_PKT1_PKS2_PKS1_S9_21rocsparse_index_base_22rocsparse_matrix_type_20rocsparse_fill_mode_23rocsparse_storage_mode_P22rocsparse_data_status_,"axG",@progbits,_ZN9rocsparseL23check_matrix_csr_deviceILj256ELj32EfllEEvT3_S1_T2_PKT1_PKS2_PKS1_S9_21rocsparse_index_base_22rocsparse_matrix_type_20rocsparse_fill_mode_23rocsparse_storage_mode_P22rocsparse_data_status_,comdat
	.globl	_ZN9rocsparseL23check_matrix_csr_deviceILj256ELj32EfllEEvT3_S1_T2_PKT1_PKS2_PKS1_S9_21rocsparse_index_base_22rocsparse_matrix_type_20rocsparse_fill_mode_23rocsparse_storage_mode_P22rocsparse_data_status_ ; -- Begin function _ZN9rocsparseL23check_matrix_csr_deviceILj256ELj32EfllEEvT3_S1_T2_PKT1_PKS2_PKS1_S9_21rocsparse_index_base_22rocsparse_matrix_type_20rocsparse_fill_mode_23rocsparse_storage_mode_P22rocsparse_data_status_
	.p2align	8
	.type	_ZN9rocsparseL23check_matrix_csr_deviceILj256ELj32EfllEEvT3_S1_T2_PKT1_PKS2_PKS1_S9_21rocsparse_index_base_22rocsparse_matrix_type_20rocsparse_fill_mode_23rocsparse_storage_mode_P22rocsparse_data_status_,@function
_ZN9rocsparseL23check_matrix_csr_deviceILj256ELj32EfllEEvT3_S1_T2_PKT1_PKS2_PKS1_S9_21rocsparse_index_base_22rocsparse_matrix_type_20rocsparse_fill_mode_23rocsparse_storage_mode_P22rocsparse_data_status_: ; @_ZN9rocsparseL23check_matrix_csr_deviceILj256ELj32EfllEEvT3_S1_T2_PKT1_PKS2_PKS1_S9_21rocsparse_index_base_22rocsparse_matrix_type_20rocsparse_fill_mode_23rocsparse_storage_mode_P22rocsparse_data_status_
; %bb.0:
	s_bfe_u32 s2, ttmp6, 0x4000c
	s_load_b128 s[4:7], s[0:1], 0x0
	s_add_co_i32 s2, s2, 1
	s_and_b32 s3, ttmp6, 15
	s_mul_i32 s2, ttmp9, s2
	s_getreg_b32 s8, hwreg(HW_REG_IB_STS2, 6, 4)
	s_add_co_i32 s3, s3, s2
	s_cmp_eq_u32 s8, 0
	v_mov_b32_e32 v3, 0
	s_cselect_b32 s2, ttmp9, s3
	s_delay_alu instid0(SALU_CYCLE_1) | instskip(SKIP_1) | instid1(VALU_DEP_1)
	v_lshl_or_b32 v1, s2, 8, v0
	s_mov_b32 s2, exec_lo
	v_lshrrev_b32_e32 v2, 5, v1
	s_wait_kmcnt 0x0
	s_delay_alu instid0(VALU_DEP_1)
	v_cmpx_gt_i64_e64 s[4:5], v[2:3]
	s_cbranch_execz .LBB65_31
; %bb.1:
	s_load_b64 s[2:3], s[0:1], 0x20
	v_dual_mov_b32 v18, 3 :: v_dual_lshlrev_b32 v1, 3, v2
	s_wait_kmcnt 0x0
	global_load_b128 v[8:11], v1, s[2:3]
	s_wait_xcnt 0x0
	s_load_b64 s[2:3], s[2:3], 0x0
	s_wait_loadcnt 0x0
	s_wait_kmcnt 0x0
	v_sub_nc_u64_e64 v[4:5], v[10:11], s[2:3]
	v_sub_nc_u64_e64 v[6:7], v[8:9], s[2:3]
	v_cmp_lt_i64_e64 s2, v[10:11], v[8:9]
	s_delay_alu instid0(VALU_DEP_3) | instskip(NEXT) | instid1(VALU_DEP_3)
	v_cmp_gt_i64_e32 vcc_lo, 0, v[4:5]
	v_cmp_lt_i64_e64 s3, -1, v[6:7]
	s_or_b32 s2, vcc_lo, s2
	s_delay_alu instid0(SALU_CYCLE_1) | instskip(SKIP_2) | instid1(SALU_CYCLE_1)
	s_xor_b32 s4, s2, -1
	s_mov_b32 s2, -1
	s_and_b32 s3, s3, s4
	s_and_saveexec_b32 s8, s3
	s_cbranch_execz .LBB65_29
; %bb.2:
	v_dual_mov_b32 v1, 0 :: v_dual_bitop2_b32 v0, 31, v0 bitop3:0x40
	v_mov_b32_e32 v18, 3
	s_mov_b32 s2, 0
	s_mov_b32 s9, exec_lo
	s_delay_alu instid0(VALU_DEP_2) | instskip(NEXT) | instid1(VALU_DEP_1)
	v_add_nc_u64_e32 v[0:1], v[6:7], v[0:1]
	v_cmpx_lt_u64_e64 v[0:1], v[4:5]
	s_cbranch_execz .LBB65_28
; %bb.3:
	s_clause 0x1
	s_load_b256 s[12:19], s[0:1], 0x28
	s_load_b64 s[2:3], s[0:1], 0x18
	v_lshlrev_b64_e32 v[10:11], 3, v[0:1]
	s_mov_b32 s5, 0
	s_wait_kmcnt 0x0
	s_delay_alu instid0(VALU_DEP_1)
	v_add_nc_u64_e32 v[8:9], s[14:15], v[10:11]
	s_cmp_lg_u32 s17, 0
	v_add_nc_u64_e32 v[10:11], s[12:13], v[10:11]
	s_cselect_b32 s10, -1, 0
	s_cmp_lg_u32 s18, 0
	v_lshl_add_u64 v[12:13], v[0:1], 2, s[2:3]
	s_cselect_b32 s11, -1, 0
	v_add_nc_u64_e32 v[8:9], -8, v[8:9]
	s_cmp_lg_u32 s19, 0
	s_mov_b32 s4, s16
	s_cselect_b32 s12, -1, 0
	s_mov_b32 s13, s5
                                        ; implicit-def: $sgpr14
                                        ; implicit-def: $sgpr15
                                        ; implicit-def: $sgpr16
	s_branch .LBB65_10
.LBB65_4:                               ;   in Loop: Header=BB65_10 Depth=1
	s_or_b32 exec_lo, exec_lo, s3
	s_delay_alu instid0(SALU_CYCLE_1)
	s_or_not1_b32 s24, s2, exec_lo
	s_or_not1_b32 s2, s21, exec_lo
.LBB65_5:                               ;   in Loop: Header=BB65_10 Depth=1
	s_or_b32 exec_lo, exec_lo, s22
	s_delay_alu instid0(SALU_CYCLE_1)
	s_or_not1_b32 s3, s24, exec_lo
	s_or_not1_b32 s2, s2, exec_lo
.LBB65_6:                               ;   in Loop: Header=BB65_10 Depth=1
	s_or_b32 exec_lo, exec_lo, s20
	s_delay_alu instid0(SALU_CYCLE_1)
	s_or_not1_b32 s3, s3, exec_lo
	s_or_not1_b32 s2, s2, exec_lo
.LBB65_7:                               ;   in Loop: Header=BB65_10 Depth=1
	s_or_b32 exec_lo, exec_lo, s19
	s_delay_alu instid0(SALU_CYCLE_1)
	s_or_not1_b32 s3, s3, exec_lo
	s_or_not1_b32 s2, s2, exec_lo
.LBB65_8:                               ;   in Loop: Header=BB65_10 Depth=1
	s_or_b32 exec_lo, exec_lo, s18
	s_delay_alu instid0(SALU_CYCLE_1)
	s_and_not1_b32 s16, s16, exec_lo
	s_and_b32 s3, s3, exec_lo
	s_and_not1_b32 s15, s15, exec_lo
	s_and_b32 s2, s2, exec_lo
	s_or_b32 s16, s16, s3
	s_or_b32 s15, s15, s2
.LBB65_9:                               ;   in Loop: Header=BB65_10 Depth=1
	s_or_b32 exec_lo, exec_lo, s17
	s_delay_alu instid0(SALU_CYCLE_1) | instskip(NEXT) | instid1(SALU_CYCLE_1)
	s_and_b32 s2, exec_lo, s15
	s_or_b32 s13, s2, s13
	s_and_not1_b32 s2, s14, exec_lo
	s_and_b32 s3, s16, exec_lo
	s_delay_alu instid0(SALU_CYCLE_1)
	s_or_b32 s14, s2, s3
	s_and_not1_b32 exec_lo, exec_lo, s13
	s_cbranch_execz .LBB65_27
.LBB65_10:                              ; =>This Inner Loop Header: Depth=1
	global_load_b64 v[14:15], v[10:11], off
	v_mov_b32_e32 v18, 4
	s_or_b32 s16, s16, exec_lo
	s_or_b32 s15, s15, exec_lo
	s_wait_loadcnt 0x0
	v_sub_nc_u64_e64 v[16:17], v[14:15], s[4:5]
	s_delay_alu instid0(VALU_DEP_1) | instskip(SKIP_2) | instid1(SALU_CYCLE_1)
	v_cmp_lt_i64_e32 vcc_lo, -1, v[16:17]
	v_cmp_gt_i64_e64 s2, s[6:7], v[16:17]
	s_and_b32 s2, vcc_lo, s2
	s_and_saveexec_b32 s17, s2
	s_cbranch_execz .LBB65_9
; %bb.11:                               ;   in Loop: Header=BB65_10 Depth=1
	v_cmp_le_i64_e64 s21, v[0:1], v[6:7]
	v_mov_b32_e32 v18, 4
	s_mov_b32 s18, exec_lo
	s_mov_b32 s19, s21
	v_cmpx_gt_i64_e64 v[0:1], v[6:7]
	s_cbranch_execz .LBB65_13
; %bb.12:                               ;   in Loop: Header=BB65_10 Depth=1
	global_load_b128 v[18:21], v[8:9], off
	s_wait_loadcnt 0x0
	v_sub_nc_u64_e64 v[22:23], v[18:19], s[4:5]
	v_cmp_ne_u64_e64 s3, v[20:21], v[18:19]
	v_mov_b32_e32 v18, 5
	s_delay_alu instid0(VALU_DEP_3) | instskip(SKIP_2) | instid1(SALU_CYCLE_1)
	v_cmp_lt_i64_e32 vcc_lo, -1, v[22:23]
	v_cmp_gt_i64_e64 s2, s[6:7], v[22:23]
	s_and_b32 s2, vcc_lo, s2
	s_xor_b32 s2, s2, -1
	s_delay_alu instid0(SALU_CYCLE_1) | instskip(SKIP_2) | instid1(SALU_CYCLE_1)
	s_or_b32 s2, s3, s2
	s_and_not1_b32 s3, s21, exec_lo
	s_and_b32 s2, s2, exec_lo
	s_or_b32 s19, s3, s2
.LBB65_13:                              ;   in Loop: Header=BB65_10 Depth=1
	s_or_b32 exec_lo, exec_lo, s18
	s_mov_b32 s2, -1
	s_mov_b32 s3, -1
	s_and_saveexec_b32 s18, s19
	s_cbranch_execz .LBB65_8
; %bb.14:                               ;   in Loop: Header=BB65_10 Depth=1
	global_load_b32 v19, v[12:13], off
	v_mov_b32_e32 v18, 1
	s_mov_b32 s19, exec_lo
	s_wait_loadcnt 0x0
	v_cmpx_neq_f32_e32 0x7f800000, v19
	s_cbranch_execz .LBB65_7
; %bb.15:                               ;   in Loop: Header=BB65_10 Depth=1
	v_mov_b32_e32 v18, 2
	s_mov_b32 s20, exec_lo
	v_cmpx_o_f32_e32 v19, v19
	s_cbranch_execz .LBB65_6
; %bb.16:                               ;   in Loop: Header=BB65_10 Depth=1
	s_and_b32 vcc_lo, exec_lo, s10
	s_cbranch_vccz .LBB65_19
; %bb.17:                               ;   in Loop: Header=BB65_10 Depth=1
	s_and_b32 vcc_lo, exec_lo, s11
	s_cbranch_vccz .LBB65_20
; %bb.18:                               ;   in Loop: Header=BB65_10 Depth=1
	v_cmp_ge_i64_e32 vcc_lo, v[16:17], v[2:3]
	s_mov_b32 s3, 7
	s_and_b32 s23, vcc_lo, exec_lo
	s_cbranch_execz .LBB65_21
	s_branch .LBB65_22
.LBB65_19:                              ;   in Loop: Header=BB65_10 Depth=1
	s_mov_b32 s3, 2
	s_mov_b32 s23, -1
	s_branch .LBB65_22
.LBB65_20:                              ;   in Loop: Header=BB65_10 Depth=1
	s_mov_b32 s23, 0
	s_mov_b32 s3, 2
.LBB65_21:                              ;   in Loop: Header=BB65_10 Depth=1
	v_cmp_le_i64_e32 vcc_lo, v[16:17], v[2:3]
	s_and_not1_b32 s22, s23, exec_lo
	s_mov_b32 s3, 7
	s_and_b32 s23, vcc_lo, exec_lo
	s_delay_alu instid0(SALU_CYCLE_1)
	s_or_b32 s23, s22, s23
.LBB65_22:                              ;   in Loop: Header=BB65_10 Depth=1
	v_mov_b32_e32 v18, s3
	s_mov_b32 s24, -1
	s_and_saveexec_b32 s22, s23
	s_cbranch_execz .LBB65_5
; %bb.23:                               ;   in Loop: Header=BB65_10 Depth=1
	v_mov_b32_e32 v18, s3
	s_nor_b32 s2, s12, s21
	s_mov_b32 s21, -1
	s_and_saveexec_b32 s23, s2
	s_cbranch_execz .LBB65_25
; %bb.24:                               ;   in Loop: Header=BB65_10 Depth=1
	global_load_b64 v[16:17], v[10:11], off offset:-8
	s_wait_loadcnt 0x0
	v_sub_nc_u64_e64 v[18:19], v[16:17], s[4:5]
	v_cmp_gt_i64_e64 s3, v[14:15], v[16:17]
	s_delay_alu instid0(VALU_DEP_2) | instskip(SKIP_3) | instid1(SALU_CYCLE_1)
	v_cmp_lt_i64_e32 vcc_lo, -1, v[18:19]
	v_cmp_gt_i64_e64 s2, s[6:7], v[18:19]
	v_mov_b32_e32 v18, 6
	s_and_b32 s2, vcc_lo, s2
	s_xor_b32 s2, s2, -1
	s_delay_alu instid0(SALU_CYCLE_1) | instskip(NEXT) | instid1(SALU_CYCLE_1)
	s_or_b32 s2, s3, s2
	s_or_not1_b32 s24, s2, exec_lo
.LBB65_25:                              ;   in Loop: Header=BB65_10 Depth=1
	s_or_b32 exec_lo, exec_lo, s23
	s_mov_b32 s2, -1
	s_and_saveexec_b32 s3, s24
	s_cbranch_execz .LBB65_4
; %bb.26:                               ;   in Loop: Header=BB65_10 Depth=1
	v_add_nc_u64_e32 v[0:1], 32, v[0:1]
	v_add_nc_u64_e32 v[8:9], 0x100, v[8:9]
	v_add_nc_u64_e32 v[12:13], 0x80, v[12:13]
	v_add_nc_u64_e32 v[10:11], 0x100, v[10:11]
	s_xor_b32 s2, exec_lo, -1
	s_delay_alu instid0(VALU_DEP_4)
	v_cmp_ge_i64_e32 vcc_lo, v[0:1], v[4:5]
	s_or_not1_b32 s21, vcc_lo, exec_lo
	s_branch .LBB65_4
.LBB65_27:
	s_or_b32 exec_lo, exec_lo, s13
	s_delay_alu instid0(SALU_CYCLE_1)
	s_and_b32 s2, s14, exec_lo
.LBB65_28:
	s_or_b32 exec_lo, exec_lo, s9
	s_delay_alu instid0(SALU_CYCLE_1)
	s_or_not1_b32 s2, s2, exec_lo
.LBB65_29:
	s_or_b32 exec_lo, exec_lo, s8
	s_delay_alu instid0(SALU_CYCLE_1)
	s_and_b32 exec_lo, exec_lo, s2
	s_cbranch_execz .LBB65_31
; %bb.30:
	s_load_b64 s[0:1], s[0:1], 0x48
	v_mov_b32_e32 v0, 0
	s_wait_kmcnt 0x0
	global_store_b32 v0, v18, s[0:1]
.LBB65_31:
	s_endpgm
	.section	.rodata,"a",@progbits
	.p2align	6, 0x0
	.amdhsa_kernel _ZN9rocsparseL23check_matrix_csr_deviceILj256ELj32EfllEEvT3_S1_T2_PKT1_PKS2_PKS1_S9_21rocsparse_index_base_22rocsparse_matrix_type_20rocsparse_fill_mode_23rocsparse_storage_mode_P22rocsparse_data_status_
		.amdhsa_group_segment_fixed_size 0
		.amdhsa_private_segment_fixed_size 0
		.amdhsa_kernarg_size 80
		.amdhsa_user_sgpr_count 2
		.amdhsa_user_sgpr_dispatch_ptr 0
		.amdhsa_user_sgpr_queue_ptr 0
		.amdhsa_user_sgpr_kernarg_segment_ptr 1
		.amdhsa_user_sgpr_dispatch_id 0
		.amdhsa_user_sgpr_kernarg_preload_length 0
		.amdhsa_user_sgpr_kernarg_preload_offset 0
		.amdhsa_user_sgpr_private_segment_size 0
		.amdhsa_wavefront_size32 1
		.amdhsa_uses_dynamic_stack 0
		.amdhsa_enable_private_segment 0
		.amdhsa_system_sgpr_workgroup_id_x 1
		.amdhsa_system_sgpr_workgroup_id_y 0
		.amdhsa_system_sgpr_workgroup_id_z 0
		.amdhsa_system_sgpr_workgroup_info 0
		.amdhsa_system_vgpr_workitem_id 0
		.amdhsa_next_free_vgpr 24
		.amdhsa_next_free_sgpr 25
		.amdhsa_named_barrier_count 0
		.amdhsa_reserve_vcc 1
		.amdhsa_float_round_mode_32 0
		.amdhsa_float_round_mode_16_64 0
		.amdhsa_float_denorm_mode_32 3
		.amdhsa_float_denorm_mode_16_64 3
		.amdhsa_fp16_overflow 0
		.amdhsa_memory_ordered 1
		.amdhsa_forward_progress 1
		.amdhsa_inst_pref_size 9
		.amdhsa_round_robin_scheduling 0
		.amdhsa_exception_fp_ieee_invalid_op 0
		.amdhsa_exception_fp_denorm_src 0
		.amdhsa_exception_fp_ieee_div_zero 0
		.amdhsa_exception_fp_ieee_overflow 0
		.amdhsa_exception_fp_ieee_underflow 0
		.amdhsa_exception_fp_ieee_inexact 0
		.amdhsa_exception_int_div_zero 0
	.end_amdhsa_kernel
	.section	.text._ZN9rocsparseL23check_matrix_csr_deviceILj256ELj32EfllEEvT3_S1_T2_PKT1_PKS2_PKS1_S9_21rocsparse_index_base_22rocsparse_matrix_type_20rocsparse_fill_mode_23rocsparse_storage_mode_P22rocsparse_data_status_,"axG",@progbits,_ZN9rocsparseL23check_matrix_csr_deviceILj256ELj32EfllEEvT3_S1_T2_PKT1_PKS2_PKS1_S9_21rocsparse_index_base_22rocsparse_matrix_type_20rocsparse_fill_mode_23rocsparse_storage_mode_P22rocsparse_data_status_,comdat
.Lfunc_end65:
	.size	_ZN9rocsparseL23check_matrix_csr_deviceILj256ELj32EfllEEvT3_S1_T2_PKT1_PKS2_PKS1_S9_21rocsparse_index_base_22rocsparse_matrix_type_20rocsparse_fill_mode_23rocsparse_storage_mode_P22rocsparse_data_status_, .Lfunc_end65-_ZN9rocsparseL23check_matrix_csr_deviceILj256ELj32EfllEEvT3_S1_T2_PKT1_PKS2_PKS1_S9_21rocsparse_index_base_22rocsparse_matrix_type_20rocsparse_fill_mode_23rocsparse_storage_mode_P22rocsparse_data_status_
                                        ; -- End function
	.set _ZN9rocsparseL23check_matrix_csr_deviceILj256ELj32EfllEEvT3_S1_T2_PKT1_PKS2_PKS1_S9_21rocsparse_index_base_22rocsparse_matrix_type_20rocsparse_fill_mode_23rocsparse_storage_mode_P22rocsparse_data_status_.num_vgpr, 24
	.set _ZN9rocsparseL23check_matrix_csr_deviceILj256ELj32EfllEEvT3_S1_T2_PKT1_PKS2_PKS1_S9_21rocsparse_index_base_22rocsparse_matrix_type_20rocsparse_fill_mode_23rocsparse_storage_mode_P22rocsparse_data_status_.num_agpr, 0
	.set _ZN9rocsparseL23check_matrix_csr_deviceILj256ELj32EfllEEvT3_S1_T2_PKT1_PKS2_PKS1_S9_21rocsparse_index_base_22rocsparse_matrix_type_20rocsparse_fill_mode_23rocsparse_storage_mode_P22rocsparse_data_status_.numbered_sgpr, 25
	.set _ZN9rocsparseL23check_matrix_csr_deviceILj256ELj32EfllEEvT3_S1_T2_PKT1_PKS2_PKS1_S9_21rocsparse_index_base_22rocsparse_matrix_type_20rocsparse_fill_mode_23rocsparse_storage_mode_P22rocsparse_data_status_.num_named_barrier, 0
	.set _ZN9rocsparseL23check_matrix_csr_deviceILj256ELj32EfllEEvT3_S1_T2_PKT1_PKS2_PKS1_S9_21rocsparse_index_base_22rocsparse_matrix_type_20rocsparse_fill_mode_23rocsparse_storage_mode_P22rocsparse_data_status_.private_seg_size, 0
	.set _ZN9rocsparseL23check_matrix_csr_deviceILj256ELj32EfllEEvT3_S1_T2_PKT1_PKS2_PKS1_S9_21rocsparse_index_base_22rocsparse_matrix_type_20rocsparse_fill_mode_23rocsparse_storage_mode_P22rocsparse_data_status_.uses_vcc, 1
	.set _ZN9rocsparseL23check_matrix_csr_deviceILj256ELj32EfllEEvT3_S1_T2_PKT1_PKS2_PKS1_S9_21rocsparse_index_base_22rocsparse_matrix_type_20rocsparse_fill_mode_23rocsparse_storage_mode_P22rocsparse_data_status_.uses_flat_scratch, 0
	.set _ZN9rocsparseL23check_matrix_csr_deviceILj256ELj32EfllEEvT3_S1_T2_PKT1_PKS2_PKS1_S9_21rocsparse_index_base_22rocsparse_matrix_type_20rocsparse_fill_mode_23rocsparse_storage_mode_P22rocsparse_data_status_.has_dyn_sized_stack, 0
	.set _ZN9rocsparseL23check_matrix_csr_deviceILj256ELj32EfllEEvT3_S1_T2_PKT1_PKS2_PKS1_S9_21rocsparse_index_base_22rocsparse_matrix_type_20rocsparse_fill_mode_23rocsparse_storage_mode_P22rocsparse_data_status_.has_recursion, 0
	.set _ZN9rocsparseL23check_matrix_csr_deviceILj256ELj32EfllEEvT3_S1_T2_PKT1_PKS2_PKS1_S9_21rocsparse_index_base_22rocsparse_matrix_type_20rocsparse_fill_mode_23rocsparse_storage_mode_P22rocsparse_data_status_.has_indirect_call, 0
	.section	.AMDGPU.csdata,"",@progbits
; Kernel info:
; codeLenInByte = 1052
; TotalNumSgprs: 27
; NumVgprs: 24
; ScratchSize: 0
; MemoryBound: 0
; FloatMode: 240
; IeeeMode: 1
; LDSByteSize: 0 bytes/workgroup (compile time only)
; SGPRBlocks: 0
; VGPRBlocks: 1
; NumSGPRsForWavesPerEU: 27
; NumVGPRsForWavesPerEU: 24
; NamedBarCnt: 0
; Occupancy: 16
; WaveLimiterHint : 0
; COMPUTE_PGM_RSRC2:SCRATCH_EN: 0
; COMPUTE_PGM_RSRC2:USER_SGPR: 2
; COMPUTE_PGM_RSRC2:TRAP_HANDLER: 0
; COMPUTE_PGM_RSRC2:TGID_X_EN: 1
; COMPUTE_PGM_RSRC2:TGID_Y_EN: 0
; COMPUTE_PGM_RSRC2:TGID_Z_EN: 0
; COMPUTE_PGM_RSRC2:TIDIG_COMP_CNT: 0
	.section	.text._ZN9rocsparseL23check_matrix_csr_deviceILj256ELj64EfllEEvT3_S1_T2_PKT1_PKS2_PKS1_S9_21rocsparse_index_base_22rocsparse_matrix_type_20rocsparse_fill_mode_23rocsparse_storage_mode_P22rocsparse_data_status_,"axG",@progbits,_ZN9rocsparseL23check_matrix_csr_deviceILj256ELj64EfllEEvT3_S1_T2_PKT1_PKS2_PKS1_S9_21rocsparse_index_base_22rocsparse_matrix_type_20rocsparse_fill_mode_23rocsparse_storage_mode_P22rocsparse_data_status_,comdat
	.globl	_ZN9rocsparseL23check_matrix_csr_deviceILj256ELj64EfllEEvT3_S1_T2_PKT1_PKS2_PKS1_S9_21rocsparse_index_base_22rocsparse_matrix_type_20rocsparse_fill_mode_23rocsparse_storage_mode_P22rocsparse_data_status_ ; -- Begin function _ZN9rocsparseL23check_matrix_csr_deviceILj256ELj64EfllEEvT3_S1_T2_PKT1_PKS2_PKS1_S9_21rocsparse_index_base_22rocsparse_matrix_type_20rocsparse_fill_mode_23rocsparse_storage_mode_P22rocsparse_data_status_
	.p2align	8
	.type	_ZN9rocsparseL23check_matrix_csr_deviceILj256ELj64EfllEEvT3_S1_T2_PKT1_PKS2_PKS1_S9_21rocsparse_index_base_22rocsparse_matrix_type_20rocsparse_fill_mode_23rocsparse_storage_mode_P22rocsparse_data_status_,@function
_ZN9rocsparseL23check_matrix_csr_deviceILj256ELj64EfllEEvT3_S1_T2_PKT1_PKS2_PKS1_S9_21rocsparse_index_base_22rocsparse_matrix_type_20rocsparse_fill_mode_23rocsparse_storage_mode_P22rocsparse_data_status_: ; @_ZN9rocsparseL23check_matrix_csr_deviceILj256ELj64EfllEEvT3_S1_T2_PKT1_PKS2_PKS1_S9_21rocsparse_index_base_22rocsparse_matrix_type_20rocsparse_fill_mode_23rocsparse_storage_mode_P22rocsparse_data_status_
; %bb.0:
	s_bfe_u32 s2, ttmp6, 0x4000c
	s_load_b128 s[4:7], s[0:1], 0x0
	s_add_co_i32 s2, s2, 1
	s_and_b32 s3, ttmp6, 15
	s_mul_i32 s2, ttmp9, s2
	s_getreg_b32 s8, hwreg(HW_REG_IB_STS2, 6, 4)
	s_add_co_i32 s3, s3, s2
	s_cmp_eq_u32 s8, 0
	v_mov_b32_e32 v3, 0
	s_cselect_b32 s2, ttmp9, s3
	s_delay_alu instid0(SALU_CYCLE_1) | instskip(SKIP_1) | instid1(VALU_DEP_1)
	v_lshl_or_b32 v1, s2, 8, v0
	s_mov_b32 s2, exec_lo
	v_lshrrev_b32_e32 v2, 6, v1
	s_wait_kmcnt 0x0
	s_delay_alu instid0(VALU_DEP_1)
	v_cmpx_gt_i64_e64 s[4:5], v[2:3]
	s_cbranch_execz .LBB66_31
; %bb.1:
	s_load_b64 s[2:3], s[0:1], 0x20
	v_dual_mov_b32 v18, 3 :: v_dual_lshlrev_b32 v1, 3, v2
	s_wait_kmcnt 0x0
	global_load_b128 v[8:11], v1, s[2:3]
	s_wait_xcnt 0x0
	s_load_b64 s[2:3], s[2:3], 0x0
	s_wait_loadcnt 0x0
	s_wait_kmcnt 0x0
	v_sub_nc_u64_e64 v[4:5], v[10:11], s[2:3]
	v_sub_nc_u64_e64 v[6:7], v[8:9], s[2:3]
	v_cmp_lt_i64_e64 s2, v[10:11], v[8:9]
	s_delay_alu instid0(VALU_DEP_3) | instskip(NEXT) | instid1(VALU_DEP_3)
	v_cmp_gt_i64_e32 vcc_lo, 0, v[4:5]
	v_cmp_lt_i64_e64 s3, -1, v[6:7]
	s_or_b32 s2, vcc_lo, s2
	s_delay_alu instid0(SALU_CYCLE_1) | instskip(SKIP_2) | instid1(SALU_CYCLE_1)
	s_xor_b32 s4, s2, -1
	s_mov_b32 s2, -1
	s_and_b32 s3, s3, s4
	s_and_saveexec_b32 s8, s3
	s_cbranch_execz .LBB66_29
; %bb.2:
	v_dual_mov_b32 v1, 0 :: v_dual_bitop2_b32 v0, 63, v0 bitop3:0x40
	v_mov_b32_e32 v18, 3
	s_mov_b32 s2, 0
	s_mov_b32 s9, exec_lo
	s_delay_alu instid0(VALU_DEP_2) | instskip(NEXT) | instid1(VALU_DEP_1)
	v_add_nc_u64_e32 v[0:1], v[6:7], v[0:1]
	v_cmpx_lt_u64_e64 v[0:1], v[4:5]
	s_cbranch_execz .LBB66_28
; %bb.3:
	s_clause 0x1
	s_load_b256 s[12:19], s[0:1], 0x28
	s_load_b64 s[2:3], s[0:1], 0x18
	v_lshlrev_b64_e32 v[10:11], 3, v[0:1]
	s_mov_b32 s5, 0
	s_wait_kmcnt 0x0
	s_delay_alu instid0(VALU_DEP_1)
	v_add_nc_u64_e32 v[8:9], s[14:15], v[10:11]
	s_cmp_lg_u32 s17, 0
	v_add_nc_u64_e32 v[10:11], s[12:13], v[10:11]
	s_cselect_b32 s10, -1, 0
	s_cmp_lg_u32 s18, 0
	v_lshl_add_u64 v[12:13], v[0:1], 2, s[2:3]
	s_cselect_b32 s11, -1, 0
	v_add_nc_u64_e32 v[8:9], -8, v[8:9]
	s_cmp_lg_u32 s19, 0
	s_mov_b32 s4, s16
	s_cselect_b32 s12, -1, 0
	s_mov_b32 s13, s5
                                        ; implicit-def: $sgpr14
                                        ; implicit-def: $sgpr15
                                        ; implicit-def: $sgpr16
	s_branch .LBB66_10
.LBB66_4:                               ;   in Loop: Header=BB66_10 Depth=1
	s_or_b32 exec_lo, exec_lo, s3
	s_delay_alu instid0(SALU_CYCLE_1)
	s_or_not1_b32 s24, s2, exec_lo
	s_or_not1_b32 s2, s21, exec_lo
.LBB66_5:                               ;   in Loop: Header=BB66_10 Depth=1
	s_or_b32 exec_lo, exec_lo, s22
	s_delay_alu instid0(SALU_CYCLE_1)
	s_or_not1_b32 s3, s24, exec_lo
	s_or_not1_b32 s2, s2, exec_lo
.LBB66_6:                               ;   in Loop: Header=BB66_10 Depth=1
	s_or_b32 exec_lo, exec_lo, s20
	s_delay_alu instid0(SALU_CYCLE_1)
	s_or_not1_b32 s3, s3, exec_lo
	s_or_not1_b32 s2, s2, exec_lo
.LBB66_7:                               ;   in Loop: Header=BB66_10 Depth=1
	s_or_b32 exec_lo, exec_lo, s19
	s_delay_alu instid0(SALU_CYCLE_1)
	s_or_not1_b32 s3, s3, exec_lo
	s_or_not1_b32 s2, s2, exec_lo
.LBB66_8:                               ;   in Loop: Header=BB66_10 Depth=1
	s_or_b32 exec_lo, exec_lo, s18
	s_delay_alu instid0(SALU_CYCLE_1)
	s_and_not1_b32 s16, s16, exec_lo
	s_and_b32 s3, s3, exec_lo
	s_and_not1_b32 s15, s15, exec_lo
	s_and_b32 s2, s2, exec_lo
	s_or_b32 s16, s16, s3
	s_or_b32 s15, s15, s2
.LBB66_9:                               ;   in Loop: Header=BB66_10 Depth=1
	s_or_b32 exec_lo, exec_lo, s17
	s_delay_alu instid0(SALU_CYCLE_1) | instskip(NEXT) | instid1(SALU_CYCLE_1)
	s_and_b32 s2, exec_lo, s15
	s_or_b32 s13, s2, s13
	s_and_not1_b32 s2, s14, exec_lo
	s_and_b32 s3, s16, exec_lo
	s_delay_alu instid0(SALU_CYCLE_1)
	s_or_b32 s14, s2, s3
	s_and_not1_b32 exec_lo, exec_lo, s13
	s_cbranch_execz .LBB66_27
.LBB66_10:                              ; =>This Inner Loop Header: Depth=1
	global_load_b64 v[14:15], v[10:11], off
	v_mov_b32_e32 v18, 4
	s_or_b32 s16, s16, exec_lo
	s_or_b32 s15, s15, exec_lo
	s_wait_loadcnt 0x0
	v_sub_nc_u64_e64 v[16:17], v[14:15], s[4:5]
	s_delay_alu instid0(VALU_DEP_1) | instskip(SKIP_2) | instid1(SALU_CYCLE_1)
	v_cmp_lt_i64_e32 vcc_lo, -1, v[16:17]
	v_cmp_gt_i64_e64 s2, s[6:7], v[16:17]
	s_and_b32 s2, vcc_lo, s2
	s_and_saveexec_b32 s17, s2
	s_cbranch_execz .LBB66_9
; %bb.11:                               ;   in Loop: Header=BB66_10 Depth=1
	v_cmp_le_i64_e64 s21, v[0:1], v[6:7]
	v_mov_b32_e32 v18, 4
	s_mov_b32 s18, exec_lo
	s_mov_b32 s19, s21
	v_cmpx_gt_i64_e64 v[0:1], v[6:7]
	s_cbranch_execz .LBB66_13
; %bb.12:                               ;   in Loop: Header=BB66_10 Depth=1
	global_load_b128 v[18:21], v[8:9], off
	s_wait_loadcnt 0x0
	v_sub_nc_u64_e64 v[22:23], v[18:19], s[4:5]
	v_cmp_ne_u64_e64 s3, v[20:21], v[18:19]
	v_mov_b32_e32 v18, 5
	s_delay_alu instid0(VALU_DEP_3) | instskip(SKIP_2) | instid1(SALU_CYCLE_1)
	v_cmp_lt_i64_e32 vcc_lo, -1, v[22:23]
	v_cmp_gt_i64_e64 s2, s[6:7], v[22:23]
	s_and_b32 s2, vcc_lo, s2
	s_xor_b32 s2, s2, -1
	s_delay_alu instid0(SALU_CYCLE_1) | instskip(SKIP_2) | instid1(SALU_CYCLE_1)
	s_or_b32 s2, s3, s2
	s_and_not1_b32 s3, s21, exec_lo
	s_and_b32 s2, s2, exec_lo
	s_or_b32 s19, s3, s2
.LBB66_13:                              ;   in Loop: Header=BB66_10 Depth=1
	s_or_b32 exec_lo, exec_lo, s18
	s_mov_b32 s2, -1
	s_mov_b32 s3, -1
	s_and_saveexec_b32 s18, s19
	s_cbranch_execz .LBB66_8
; %bb.14:                               ;   in Loop: Header=BB66_10 Depth=1
	global_load_b32 v19, v[12:13], off
	v_mov_b32_e32 v18, 1
	s_mov_b32 s19, exec_lo
	s_wait_loadcnt 0x0
	v_cmpx_neq_f32_e32 0x7f800000, v19
	s_cbranch_execz .LBB66_7
; %bb.15:                               ;   in Loop: Header=BB66_10 Depth=1
	v_mov_b32_e32 v18, 2
	s_mov_b32 s20, exec_lo
	v_cmpx_o_f32_e32 v19, v19
	s_cbranch_execz .LBB66_6
; %bb.16:                               ;   in Loop: Header=BB66_10 Depth=1
	s_and_b32 vcc_lo, exec_lo, s10
	s_cbranch_vccz .LBB66_19
; %bb.17:                               ;   in Loop: Header=BB66_10 Depth=1
	s_and_b32 vcc_lo, exec_lo, s11
	s_cbranch_vccz .LBB66_20
; %bb.18:                               ;   in Loop: Header=BB66_10 Depth=1
	v_cmp_ge_i64_e32 vcc_lo, v[16:17], v[2:3]
	s_mov_b32 s3, 7
	s_and_b32 s23, vcc_lo, exec_lo
	s_cbranch_execz .LBB66_21
	s_branch .LBB66_22
.LBB66_19:                              ;   in Loop: Header=BB66_10 Depth=1
	s_mov_b32 s3, 2
	s_mov_b32 s23, -1
	s_branch .LBB66_22
.LBB66_20:                              ;   in Loop: Header=BB66_10 Depth=1
	s_mov_b32 s23, 0
	s_mov_b32 s3, 2
.LBB66_21:                              ;   in Loop: Header=BB66_10 Depth=1
	v_cmp_le_i64_e32 vcc_lo, v[16:17], v[2:3]
	s_and_not1_b32 s22, s23, exec_lo
	s_mov_b32 s3, 7
	s_and_b32 s23, vcc_lo, exec_lo
	s_delay_alu instid0(SALU_CYCLE_1)
	s_or_b32 s23, s22, s23
.LBB66_22:                              ;   in Loop: Header=BB66_10 Depth=1
	v_mov_b32_e32 v18, s3
	s_mov_b32 s24, -1
	s_and_saveexec_b32 s22, s23
	s_cbranch_execz .LBB66_5
; %bb.23:                               ;   in Loop: Header=BB66_10 Depth=1
	v_mov_b32_e32 v18, s3
	s_nor_b32 s2, s12, s21
	s_mov_b32 s21, -1
	s_and_saveexec_b32 s23, s2
	s_cbranch_execz .LBB66_25
; %bb.24:                               ;   in Loop: Header=BB66_10 Depth=1
	global_load_b64 v[16:17], v[10:11], off offset:-8
	s_wait_loadcnt 0x0
	v_sub_nc_u64_e64 v[18:19], v[16:17], s[4:5]
	v_cmp_gt_i64_e64 s3, v[14:15], v[16:17]
	s_delay_alu instid0(VALU_DEP_2) | instskip(SKIP_3) | instid1(SALU_CYCLE_1)
	v_cmp_lt_i64_e32 vcc_lo, -1, v[18:19]
	v_cmp_gt_i64_e64 s2, s[6:7], v[18:19]
	v_mov_b32_e32 v18, 6
	s_and_b32 s2, vcc_lo, s2
	s_xor_b32 s2, s2, -1
	s_delay_alu instid0(SALU_CYCLE_1) | instskip(NEXT) | instid1(SALU_CYCLE_1)
	s_or_b32 s2, s3, s2
	s_or_not1_b32 s24, s2, exec_lo
.LBB66_25:                              ;   in Loop: Header=BB66_10 Depth=1
	s_or_b32 exec_lo, exec_lo, s23
	s_mov_b32 s2, -1
	s_and_saveexec_b32 s3, s24
	s_cbranch_execz .LBB66_4
; %bb.26:                               ;   in Loop: Header=BB66_10 Depth=1
	v_add_nc_u64_e32 v[0:1], 64, v[0:1]
	v_add_nc_u64_e32 v[8:9], 0x200, v[8:9]
	;; [unrolled: 1-line block ×4, first 2 shown]
	s_xor_b32 s2, exec_lo, -1
	s_delay_alu instid0(VALU_DEP_4)
	v_cmp_ge_i64_e32 vcc_lo, v[0:1], v[4:5]
	s_or_not1_b32 s21, vcc_lo, exec_lo
	s_branch .LBB66_4
.LBB66_27:
	s_or_b32 exec_lo, exec_lo, s13
	s_delay_alu instid0(SALU_CYCLE_1)
	s_and_b32 s2, s14, exec_lo
.LBB66_28:
	s_or_b32 exec_lo, exec_lo, s9
	s_delay_alu instid0(SALU_CYCLE_1)
	s_or_not1_b32 s2, s2, exec_lo
.LBB66_29:
	s_or_b32 exec_lo, exec_lo, s8
	s_delay_alu instid0(SALU_CYCLE_1)
	s_and_b32 exec_lo, exec_lo, s2
	s_cbranch_execz .LBB66_31
; %bb.30:
	s_load_b64 s[0:1], s[0:1], 0x48
	v_mov_b32_e32 v0, 0
	s_wait_kmcnt 0x0
	global_store_b32 v0, v18, s[0:1]
.LBB66_31:
	s_endpgm
	.section	.rodata,"a",@progbits
	.p2align	6, 0x0
	.amdhsa_kernel _ZN9rocsparseL23check_matrix_csr_deviceILj256ELj64EfllEEvT3_S1_T2_PKT1_PKS2_PKS1_S9_21rocsparse_index_base_22rocsparse_matrix_type_20rocsparse_fill_mode_23rocsparse_storage_mode_P22rocsparse_data_status_
		.amdhsa_group_segment_fixed_size 0
		.amdhsa_private_segment_fixed_size 0
		.amdhsa_kernarg_size 80
		.amdhsa_user_sgpr_count 2
		.amdhsa_user_sgpr_dispatch_ptr 0
		.amdhsa_user_sgpr_queue_ptr 0
		.amdhsa_user_sgpr_kernarg_segment_ptr 1
		.amdhsa_user_sgpr_dispatch_id 0
		.amdhsa_user_sgpr_kernarg_preload_length 0
		.amdhsa_user_sgpr_kernarg_preload_offset 0
		.amdhsa_user_sgpr_private_segment_size 0
		.amdhsa_wavefront_size32 1
		.amdhsa_uses_dynamic_stack 0
		.amdhsa_enable_private_segment 0
		.amdhsa_system_sgpr_workgroup_id_x 1
		.amdhsa_system_sgpr_workgroup_id_y 0
		.amdhsa_system_sgpr_workgroup_id_z 0
		.amdhsa_system_sgpr_workgroup_info 0
		.amdhsa_system_vgpr_workitem_id 0
		.amdhsa_next_free_vgpr 24
		.amdhsa_next_free_sgpr 25
		.amdhsa_named_barrier_count 0
		.amdhsa_reserve_vcc 1
		.amdhsa_float_round_mode_32 0
		.amdhsa_float_round_mode_16_64 0
		.amdhsa_float_denorm_mode_32 3
		.amdhsa_float_denorm_mode_16_64 3
		.amdhsa_fp16_overflow 0
		.amdhsa_memory_ordered 1
		.amdhsa_forward_progress 1
		.amdhsa_inst_pref_size 9
		.amdhsa_round_robin_scheduling 0
		.amdhsa_exception_fp_ieee_invalid_op 0
		.amdhsa_exception_fp_denorm_src 0
		.amdhsa_exception_fp_ieee_div_zero 0
		.amdhsa_exception_fp_ieee_overflow 0
		.amdhsa_exception_fp_ieee_underflow 0
		.amdhsa_exception_fp_ieee_inexact 0
		.amdhsa_exception_int_div_zero 0
	.end_amdhsa_kernel
	.section	.text._ZN9rocsparseL23check_matrix_csr_deviceILj256ELj64EfllEEvT3_S1_T2_PKT1_PKS2_PKS1_S9_21rocsparse_index_base_22rocsparse_matrix_type_20rocsparse_fill_mode_23rocsparse_storage_mode_P22rocsparse_data_status_,"axG",@progbits,_ZN9rocsparseL23check_matrix_csr_deviceILj256ELj64EfllEEvT3_S1_T2_PKT1_PKS2_PKS1_S9_21rocsparse_index_base_22rocsparse_matrix_type_20rocsparse_fill_mode_23rocsparse_storage_mode_P22rocsparse_data_status_,comdat
.Lfunc_end66:
	.size	_ZN9rocsparseL23check_matrix_csr_deviceILj256ELj64EfllEEvT3_S1_T2_PKT1_PKS2_PKS1_S9_21rocsparse_index_base_22rocsparse_matrix_type_20rocsparse_fill_mode_23rocsparse_storage_mode_P22rocsparse_data_status_, .Lfunc_end66-_ZN9rocsparseL23check_matrix_csr_deviceILj256ELj64EfllEEvT3_S1_T2_PKT1_PKS2_PKS1_S9_21rocsparse_index_base_22rocsparse_matrix_type_20rocsparse_fill_mode_23rocsparse_storage_mode_P22rocsparse_data_status_
                                        ; -- End function
	.set _ZN9rocsparseL23check_matrix_csr_deviceILj256ELj64EfllEEvT3_S1_T2_PKT1_PKS2_PKS1_S9_21rocsparse_index_base_22rocsparse_matrix_type_20rocsparse_fill_mode_23rocsparse_storage_mode_P22rocsparse_data_status_.num_vgpr, 24
	.set _ZN9rocsparseL23check_matrix_csr_deviceILj256ELj64EfllEEvT3_S1_T2_PKT1_PKS2_PKS1_S9_21rocsparse_index_base_22rocsparse_matrix_type_20rocsparse_fill_mode_23rocsparse_storage_mode_P22rocsparse_data_status_.num_agpr, 0
	.set _ZN9rocsparseL23check_matrix_csr_deviceILj256ELj64EfllEEvT3_S1_T2_PKT1_PKS2_PKS1_S9_21rocsparse_index_base_22rocsparse_matrix_type_20rocsparse_fill_mode_23rocsparse_storage_mode_P22rocsparse_data_status_.numbered_sgpr, 25
	.set _ZN9rocsparseL23check_matrix_csr_deviceILj256ELj64EfllEEvT3_S1_T2_PKT1_PKS2_PKS1_S9_21rocsparse_index_base_22rocsparse_matrix_type_20rocsparse_fill_mode_23rocsparse_storage_mode_P22rocsparse_data_status_.num_named_barrier, 0
	.set _ZN9rocsparseL23check_matrix_csr_deviceILj256ELj64EfllEEvT3_S1_T2_PKT1_PKS2_PKS1_S9_21rocsparse_index_base_22rocsparse_matrix_type_20rocsparse_fill_mode_23rocsparse_storage_mode_P22rocsparse_data_status_.private_seg_size, 0
	.set _ZN9rocsparseL23check_matrix_csr_deviceILj256ELj64EfllEEvT3_S1_T2_PKT1_PKS2_PKS1_S9_21rocsparse_index_base_22rocsparse_matrix_type_20rocsparse_fill_mode_23rocsparse_storage_mode_P22rocsparse_data_status_.uses_vcc, 1
	.set _ZN9rocsparseL23check_matrix_csr_deviceILj256ELj64EfllEEvT3_S1_T2_PKT1_PKS2_PKS1_S9_21rocsparse_index_base_22rocsparse_matrix_type_20rocsparse_fill_mode_23rocsparse_storage_mode_P22rocsparse_data_status_.uses_flat_scratch, 0
	.set _ZN9rocsparseL23check_matrix_csr_deviceILj256ELj64EfllEEvT3_S1_T2_PKT1_PKS2_PKS1_S9_21rocsparse_index_base_22rocsparse_matrix_type_20rocsparse_fill_mode_23rocsparse_storage_mode_P22rocsparse_data_status_.has_dyn_sized_stack, 0
	.set _ZN9rocsparseL23check_matrix_csr_deviceILj256ELj64EfllEEvT3_S1_T2_PKT1_PKS2_PKS1_S9_21rocsparse_index_base_22rocsparse_matrix_type_20rocsparse_fill_mode_23rocsparse_storage_mode_P22rocsparse_data_status_.has_recursion, 0
	.set _ZN9rocsparseL23check_matrix_csr_deviceILj256ELj64EfllEEvT3_S1_T2_PKT1_PKS2_PKS1_S9_21rocsparse_index_base_22rocsparse_matrix_type_20rocsparse_fill_mode_23rocsparse_storage_mode_P22rocsparse_data_status_.has_indirect_call, 0
	.section	.AMDGPU.csdata,"",@progbits
; Kernel info:
; codeLenInByte = 1052
; TotalNumSgprs: 27
; NumVgprs: 24
; ScratchSize: 0
; MemoryBound: 0
; FloatMode: 240
; IeeeMode: 1
; LDSByteSize: 0 bytes/workgroup (compile time only)
; SGPRBlocks: 0
; VGPRBlocks: 1
; NumSGPRsForWavesPerEU: 27
; NumVGPRsForWavesPerEU: 24
; NamedBarCnt: 0
; Occupancy: 16
; WaveLimiterHint : 0
; COMPUTE_PGM_RSRC2:SCRATCH_EN: 0
; COMPUTE_PGM_RSRC2:USER_SGPR: 2
; COMPUTE_PGM_RSRC2:TRAP_HANDLER: 0
; COMPUTE_PGM_RSRC2:TGID_X_EN: 1
; COMPUTE_PGM_RSRC2:TGID_Y_EN: 0
; COMPUTE_PGM_RSRC2:TGID_Z_EN: 0
; COMPUTE_PGM_RSRC2:TIDIG_COMP_CNT: 0
	.section	.text._ZN9rocsparseL23check_matrix_csr_deviceILj256ELj128EfllEEvT3_S1_T2_PKT1_PKS2_PKS1_S9_21rocsparse_index_base_22rocsparse_matrix_type_20rocsparse_fill_mode_23rocsparse_storage_mode_P22rocsparse_data_status_,"axG",@progbits,_ZN9rocsparseL23check_matrix_csr_deviceILj256ELj128EfllEEvT3_S1_T2_PKT1_PKS2_PKS1_S9_21rocsparse_index_base_22rocsparse_matrix_type_20rocsparse_fill_mode_23rocsparse_storage_mode_P22rocsparse_data_status_,comdat
	.globl	_ZN9rocsparseL23check_matrix_csr_deviceILj256ELj128EfllEEvT3_S1_T2_PKT1_PKS2_PKS1_S9_21rocsparse_index_base_22rocsparse_matrix_type_20rocsparse_fill_mode_23rocsparse_storage_mode_P22rocsparse_data_status_ ; -- Begin function _ZN9rocsparseL23check_matrix_csr_deviceILj256ELj128EfllEEvT3_S1_T2_PKT1_PKS2_PKS1_S9_21rocsparse_index_base_22rocsparse_matrix_type_20rocsparse_fill_mode_23rocsparse_storage_mode_P22rocsparse_data_status_
	.p2align	8
	.type	_ZN9rocsparseL23check_matrix_csr_deviceILj256ELj128EfllEEvT3_S1_T2_PKT1_PKS2_PKS1_S9_21rocsparse_index_base_22rocsparse_matrix_type_20rocsparse_fill_mode_23rocsparse_storage_mode_P22rocsparse_data_status_,@function
_ZN9rocsparseL23check_matrix_csr_deviceILj256ELj128EfllEEvT3_S1_T2_PKT1_PKS2_PKS1_S9_21rocsparse_index_base_22rocsparse_matrix_type_20rocsparse_fill_mode_23rocsparse_storage_mode_P22rocsparse_data_status_: ; @_ZN9rocsparseL23check_matrix_csr_deviceILj256ELj128EfllEEvT3_S1_T2_PKT1_PKS2_PKS1_S9_21rocsparse_index_base_22rocsparse_matrix_type_20rocsparse_fill_mode_23rocsparse_storage_mode_P22rocsparse_data_status_
; %bb.0:
	s_bfe_u32 s2, ttmp6, 0x4000c
	s_load_b128 s[4:7], s[0:1], 0x0
	s_add_co_i32 s2, s2, 1
	s_and_b32 s3, ttmp6, 15
	s_mul_i32 s2, ttmp9, s2
	s_getreg_b32 s8, hwreg(HW_REG_IB_STS2, 6, 4)
	s_add_co_i32 s3, s3, s2
	s_cmp_eq_u32 s8, 0
	v_mov_b32_e32 v3, 0
	s_cselect_b32 s2, ttmp9, s3
	s_delay_alu instid0(SALU_CYCLE_1) | instskip(SKIP_1) | instid1(VALU_DEP_1)
	v_lshl_or_b32 v1, s2, 8, v0
	s_mov_b32 s2, exec_lo
	v_lshrrev_b32_e32 v2, 7, v1
	s_wait_kmcnt 0x0
	s_delay_alu instid0(VALU_DEP_1)
	v_cmpx_gt_i64_e64 s[4:5], v[2:3]
	s_cbranch_execz .LBB67_31
; %bb.1:
	s_load_b64 s[2:3], s[0:1], 0x20
	v_dual_mov_b32 v18, 3 :: v_dual_lshlrev_b32 v1, 3, v2
	s_wait_kmcnt 0x0
	global_load_b128 v[8:11], v1, s[2:3]
	s_wait_xcnt 0x0
	s_load_b64 s[2:3], s[2:3], 0x0
	s_wait_loadcnt 0x0
	s_wait_kmcnt 0x0
	v_sub_nc_u64_e64 v[4:5], v[10:11], s[2:3]
	v_sub_nc_u64_e64 v[6:7], v[8:9], s[2:3]
	v_cmp_lt_i64_e64 s2, v[10:11], v[8:9]
	s_delay_alu instid0(VALU_DEP_3) | instskip(NEXT) | instid1(VALU_DEP_3)
	v_cmp_gt_i64_e32 vcc_lo, 0, v[4:5]
	v_cmp_lt_i64_e64 s3, -1, v[6:7]
	s_or_b32 s2, vcc_lo, s2
	s_delay_alu instid0(SALU_CYCLE_1) | instskip(SKIP_2) | instid1(SALU_CYCLE_1)
	s_xor_b32 s4, s2, -1
	s_mov_b32 s2, -1
	s_and_b32 s3, s3, s4
	s_and_saveexec_b32 s8, s3
	s_cbranch_execz .LBB67_29
; %bb.2:
	v_and_b32_e32 v0, 0x7f, v0
	v_dual_mov_b32 v1, 0 :: v_dual_mov_b32 v18, 3
	s_mov_b32 s2, 0
	s_mov_b32 s9, exec_lo
	s_delay_alu instid0(VALU_DEP_1) | instskip(NEXT) | instid1(VALU_DEP_1)
	v_add_nc_u64_e32 v[0:1], v[6:7], v[0:1]
	v_cmpx_lt_u64_e64 v[0:1], v[4:5]
	s_cbranch_execz .LBB67_28
; %bb.3:
	s_clause 0x1
	s_load_b256 s[12:19], s[0:1], 0x28
	s_load_b64 s[2:3], s[0:1], 0x18
	v_lshlrev_b64_e32 v[10:11], 3, v[0:1]
	s_mov_b32 s5, 0
	s_wait_kmcnt 0x0
	s_delay_alu instid0(VALU_DEP_1)
	v_add_nc_u64_e32 v[8:9], s[14:15], v[10:11]
	s_cmp_lg_u32 s17, 0
	v_add_nc_u64_e32 v[10:11], s[12:13], v[10:11]
	s_cselect_b32 s10, -1, 0
	s_cmp_lg_u32 s18, 0
	v_lshl_add_u64 v[12:13], v[0:1], 2, s[2:3]
	s_cselect_b32 s11, -1, 0
	v_add_nc_u64_e32 v[8:9], -8, v[8:9]
	s_cmp_lg_u32 s19, 0
	s_mov_b32 s4, s16
	s_cselect_b32 s12, -1, 0
	s_mov_b32 s13, s5
                                        ; implicit-def: $sgpr14
                                        ; implicit-def: $sgpr15
                                        ; implicit-def: $sgpr16
	s_branch .LBB67_10
.LBB67_4:                               ;   in Loop: Header=BB67_10 Depth=1
	s_or_b32 exec_lo, exec_lo, s3
	s_delay_alu instid0(SALU_CYCLE_1)
	s_or_not1_b32 s24, s2, exec_lo
	s_or_not1_b32 s2, s21, exec_lo
.LBB67_5:                               ;   in Loop: Header=BB67_10 Depth=1
	s_or_b32 exec_lo, exec_lo, s22
	s_delay_alu instid0(SALU_CYCLE_1)
	s_or_not1_b32 s3, s24, exec_lo
	s_or_not1_b32 s2, s2, exec_lo
.LBB67_6:                               ;   in Loop: Header=BB67_10 Depth=1
	s_or_b32 exec_lo, exec_lo, s20
	s_delay_alu instid0(SALU_CYCLE_1)
	s_or_not1_b32 s3, s3, exec_lo
	s_or_not1_b32 s2, s2, exec_lo
.LBB67_7:                               ;   in Loop: Header=BB67_10 Depth=1
	s_or_b32 exec_lo, exec_lo, s19
	s_delay_alu instid0(SALU_CYCLE_1)
	s_or_not1_b32 s3, s3, exec_lo
	s_or_not1_b32 s2, s2, exec_lo
.LBB67_8:                               ;   in Loop: Header=BB67_10 Depth=1
	s_or_b32 exec_lo, exec_lo, s18
	s_delay_alu instid0(SALU_CYCLE_1)
	s_and_not1_b32 s16, s16, exec_lo
	s_and_b32 s3, s3, exec_lo
	s_and_not1_b32 s15, s15, exec_lo
	s_and_b32 s2, s2, exec_lo
	s_or_b32 s16, s16, s3
	s_or_b32 s15, s15, s2
.LBB67_9:                               ;   in Loop: Header=BB67_10 Depth=1
	s_or_b32 exec_lo, exec_lo, s17
	s_delay_alu instid0(SALU_CYCLE_1) | instskip(NEXT) | instid1(SALU_CYCLE_1)
	s_and_b32 s2, exec_lo, s15
	s_or_b32 s13, s2, s13
	s_and_not1_b32 s2, s14, exec_lo
	s_and_b32 s3, s16, exec_lo
	s_delay_alu instid0(SALU_CYCLE_1)
	s_or_b32 s14, s2, s3
	s_and_not1_b32 exec_lo, exec_lo, s13
	s_cbranch_execz .LBB67_27
.LBB67_10:                              ; =>This Inner Loop Header: Depth=1
	global_load_b64 v[14:15], v[10:11], off
	v_mov_b32_e32 v18, 4
	s_or_b32 s16, s16, exec_lo
	s_or_b32 s15, s15, exec_lo
	s_wait_loadcnt 0x0
	v_sub_nc_u64_e64 v[16:17], v[14:15], s[4:5]
	s_delay_alu instid0(VALU_DEP_1) | instskip(SKIP_2) | instid1(SALU_CYCLE_1)
	v_cmp_lt_i64_e32 vcc_lo, -1, v[16:17]
	v_cmp_gt_i64_e64 s2, s[6:7], v[16:17]
	s_and_b32 s2, vcc_lo, s2
	s_and_saveexec_b32 s17, s2
	s_cbranch_execz .LBB67_9
; %bb.11:                               ;   in Loop: Header=BB67_10 Depth=1
	v_cmp_le_i64_e64 s21, v[0:1], v[6:7]
	v_mov_b32_e32 v18, 4
	s_mov_b32 s18, exec_lo
	s_mov_b32 s19, s21
	v_cmpx_gt_i64_e64 v[0:1], v[6:7]
	s_cbranch_execz .LBB67_13
; %bb.12:                               ;   in Loop: Header=BB67_10 Depth=1
	global_load_b128 v[18:21], v[8:9], off
	s_wait_loadcnt 0x0
	v_sub_nc_u64_e64 v[22:23], v[18:19], s[4:5]
	v_cmp_ne_u64_e64 s3, v[20:21], v[18:19]
	v_mov_b32_e32 v18, 5
	s_delay_alu instid0(VALU_DEP_3) | instskip(SKIP_2) | instid1(SALU_CYCLE_1)
	v_cmp_lt_i64_e32 vcc_lo, -1, v[22:23]
	v_cmp_gt_i64_e64 s2, s[6:7], v[22:23]
	s_and_b32 s2, vcc_lo, s2
	s_xor_b32 s2, s2, -1
	s_delay_alu instid0(SALU_CYCLE_1) | instskip(SKIP_2) | instid1(SALU_CYCLE_1)
	s_or_b32 s2, s3, s2
	s_and_not1_b32 s3, s21, exec_lo
	s_and_b32 s2, s2, exec_lo
	s_or_b32 s19, s3, s2
.LBB67_13:                              ;   in Loop: Header=BB67_10 Depth=1
	s_or_b32 exec_lo, exec_lo, s18
	s_mov_b32 s2, -1
	s_mov_b32 s3, -1
	s_and_saveexec_b32 s18, s19
	s_cbranch_execz .LBB67_8
; %bb.14:                               ;   in Loop: Header=BB67_10 Depth=1
	global_load_b32 v19, v[12:13], off
	v_mov_b32_e32 v18, 1
	s_mov_b32 s19, exec_lo
	s_wait_loadcnt 0x0
	v_cmpx_neq_f32_e32 0x7f800000, v19
	s_cbranch_execz .LBB67_7
; %bb.15:                               ;   in Loop: Header=BB67_10 Depth=1
	v_mov_b32_e32 v18, 2
	s_mov_b32 s20, exec_lo
	v_cmpx_o_f32_e32 v19, v19
	s_cbranch_execz .LBB67_6
; %bb.16:                               ;   in Loop: Header=BB67_10 Depth=1
	s_and_b32 vcc_lo, exec_lo, s10
	s_cbranch_vccz .LBB67_19
; %bb.17:                               ;   in Loop: Header=BB67_10 Depth=1
	s_and_b32 vcc_lo, exec_lo, s11
	s_cbranch_vccz .LBB67_20
; %bb.18:                               ;   in Loop: Header=BB67_10 Depth=1
	v_cmp_ge_i64_e32 vcc_lo, v[16:17], v[2:3]
	s_mov_b32 s3, 7
	s_and_b32 s23, vcc_lo, exec_lo
	s_cbranch_execz .LBB67_21
	s_branch .LBB67_22
.LBB67_19:                              ;   in Loop: Header=BB67_10 Depth=1
	s_mov_b32 s3, 2
	s_mov_b32 s23, -1
	s_branch .LBB67_22
.LBB67_20:                              ;   in Loop: Header=BB67_10 Depth=1
	s_mov_b32 s23, 0
	s_mov_b32 s3, 2
.LBB67_21:                              ;   in Loop: Header=BB67_10 Depth=1
	v_cmp_le_i64_e32 vcc_lo, v[16:17], v[2:3]
	s_and_not1_b32 s22, s23, exec_lo
	s_mov_b32 s3, 7
	s_and_b32 s23, vcc_lo, exec_lo
	s_delay_alu instid0(SALU_CYCLE_1)
	s_or_b32 s23, s22, s23
.LBB67_22:                              ;   in Loop: Header=BB67_10 Depth=1
	v_mov_b32_e32 v18, s3
	s_mov_b32 s24, -1
	s_and_saveexec_b32 s22, s23
	s_cbranch_execz .LBB67_5
; %bb.23:                               ;   in Loop: Header=BB67_10 Depth=1
	v_mov_b32_e32 v18, s3
	s_nor_b32 s2, s12, s21
	s_mov_b32 s21, -1
	s_and_saveexec_b32 s23, s2
	s_cbranch_execz .LBB67_25
; %bb.24:                               ;   in Loop: Header=BB67_10 Depth=1
	global_load_b64 v[16:17], v[10:11], off offset:-8
	s_wait_loadcnt 0x0
	v_sub_nc_u64_e64 v[18:19], v[16:17], s[4:5]
	v_cmp_gt_i64_e64 s3, v[14:15], v[16:17]
	s_delay_alu instid0(VALU_DEP_2) | instskip(SKIP_3) | instid1(SALU_CYCLE_1)
	v_cmp_lt_i64_e32 vcc_lo, -1, v[18:19]
	v_cmp_gt_i64_e64 s2, s[6:7], v[18:19]
	v_mov_b32_e32 v18, 6
	s_and_b32 s2, vcc_lo, s2
	s_xor_b32 s2, s2, -1
	s_delay_alu instid0(SALU_CYCLE_1) | instskip(NEXT) | instid1(SALU_CYCLE_1)
	s_or_b32 s2, s3, s2
	s_or_not1_b32 s24, s2, exec_lo
.LBB67_25:                              ;   in Loop: Header=BB67_10 Depth=1
	s_or_b32 exec_lo, exec_lo, s23
	s_mov_b32 s2, -1
	s_and_saveexec_b32 s3, s24
	s_cbranch_execz .LBB67_4
; %bb.26:                               ;   in Loop: Header=BB67_10 Depth=1
	v_add_nc_u64_e32 v[0:1], 0x80, v[0:1]
	v_add_nc_u64_e32 v[8:9], 0x400, v[8:9]
	;; [unrolled: 1-line block ×4, first 2 shown]
	s_xor_b32 s2, exec_lo, -1
	s_delay_alu instid0(VALU_DEP_4)
	v_cmp_ge_i64_e32 vcc_lo, v[0:1], v[4:5]
	s_or_not1_b32 s21, vcc_lo, exec_lo
	s_branch .LBB67_4
.LBB67_27:
	s_or_b32 exec_lo, exec_lo, s13
	s_delay_alu instid0(SALU_CYCLE_1)
	s_and_b32 s2, s14, exec_lo
.LBB67_28:
	s_or_b32 exec_lo, exec_lo, s9
	s_delay_alu instid0(SALU_CYCLE_1)
	s_or_not1_b32 s2, s2, exec_lo
.LBB67_29:
	s_or_b32 exec_lo, exec_lo, s8
	s_delay_alu instid0(SALU_CYCLE_1)
	s_and_b32 exec_lo, exec_lo, s2
	s_cbranch_execz .LBB67_31
; %bb.30:
	s_load_b64 s[0:1], s[0:1], 0x48
	v_mov_b32_e32 v0, 0
	s_wait_kmcnt 0x0
	global_store_b32 v0, v18, s[0:1]
.LBB67_31:
	s_endpgm
	.section	.rodata,"a",@progbits
	.p2align	6, 0x0
	.amdhsa_kernel _ZN9rocsparseL23check_matrix_csr_deviceILj256ELj128EfllEEvT3_S1_T2_PKT1_PKS2_PKS1_S9_21rocsparse_index_base_22rocsparse_matrix_type_20rocsparse_fill_mode_23rocsparse_storage_mode_P22rocsparse_data_status_
		.amdhsa_group_segment_fixed_size 0
		.amdhsa_private_segment_fixed_size 0
		.amdhsa_kernarg_size 80
		.amdhsa_user_sgpr_count 2
		.amdhsa_user_sgpr_dispatch_ptr 0
		.amdhsa_user_sgpr_queue_ptr 0
		.amdhsa_user_sgpr_kernarg_segment_ptr 1
		.amdhsa_user_sgpr_dispatch_id 0
		.amdhsa_user_sgpr_kernarg_preload_length 0
		.amdhsa_user_sgpr_kernarg_preload_offset 0
		.amdhsa_user_sgpr_private_segment_size 0
		.amdhsa_wavefront_size32 1
		.amdhsa_uses_dynamic_stack 0
		.amdhsa_enable_private_segment 0
		.amdhsa_system_sgpr_workgroup_id_x 1
		.amdhsa_system_sgpr_workgroup_id_y 0
		.amdhsa_system_sgpr_workgroup_id_z 0
		.amdhsa_system_sgpr_workgroup_info 0
		.amdhsa_system_vgpr_workitem_id 0
		.amdhsa_next_free_vgpr 24
		.amdhsa_next_free_sgpr 25
		.amdhsa_named_barrier_count 0
		.amdhsa_reserve_vcc 1
		.amdhsa_float_round_mode_32 0
		.amdhsa_float_round_mode_16_64 0
		.amdhsa_float_denorm_mode_32 3
		.amdhsa_float_denorm_mode_16_64 3
		.amdhsa_fp16_overflow 0
		.amdhsa_memory_ordered 1
		.amdhsa_forward_progress 1
		.amdhsa_inst_pref_size 9
		.amdhsa_round_robin_scheduling 0
		.amdhsa_exception_fp_ieee_invalid_op 0
		.amdhsa_exception_fp_denorm_src 0
		.amdhsa_exception_fp_ieee_div_zero 0
		.amdhsa_exception_fp_ieee_overflow 0
		.amdhsa_exception_fp_ieee_underflow 0
		.amdhsa_exception_fp_ieee_inexact 0
		.amdhsa_exception_int_div_zero 0
	.end_amdhsa_kernel
	.section	.text._ZN9rocsparseL23check_matrix_csr_deviceILj256ELj128EfllEEvT3_S1_T2_PKT1_PKS2_PKS1_S9_21rocsparse_index_base_22rocsparse_matrix_type_20rocsparse_fill_mode_23rocsparse_storage_mode_P22rocsparse_data_status_,"axG",@progbits,_ZN9rocsparseL23check_matrix_csr_deviceILj256ELj128EfllEEvT3_S1_T2_PKT1_PKS2_PKS1_S9_21rocsparse_index_base_22rocsparse_matrix_type_20rocsparse_fill_mode_23rocsparse_storage_mode_P22rocsparse_data_status_,comdat
.Lfunc_end67:
	.size	_ZN9rocsparseL23check_matrix_csr_deviceILj256ELj128EfllEEvT3_S1_T2_PKT1_PKS2_PKS1_S9_21rocsparse_index_base_22rocsparse_matrix_type_20rocsparse_fill_mode_23rocsparse_storage_mode_P22rocsparse_data_status_, .Lfunc_end67-_ZN9rocsparseL23check_matrix_csr_deviceILj256ELj128EfllEEvT3_S1_T2_PKT1_PKS2_PKS1_S9_21rocsparse_index_base_22rocsparse_matrix_type_20rocsparse_fill_mode_23rocsparse_storage_mode_P22rocsparse_data_status_
                                        ; -- End function
	.set _ZN9rocsparseL23check_matrix_csr_deviceILj256ELj128EfllEEvT3_S1_T2_PKT1_PKS2_PKS1_S9_21rocsparse_index_base_22rocsparse_matrix_type_20rocsparse_fill_mode_23rocsparse_storage_mode_P22rocsparse_data_status_.num_vgpr, 24
	.set _ZN9rocsparseL23check_matrix_csr_deviceILj256ELj128EfllEEvT3_S1_T2_PKT1_PKS2_PKS1_S9_21rocsparse_index_base_22rocsparse_matrix_type_20rocsparse_fill_mode_23rocsparse_storage_mode_P22rocsparse_data_status_.num_agpr, 0
	.set _ZN9rocsparseL23check_matrix_csr_deviceILj256ELj128EfllEEvT3_S1_T2_PKT1_PKS2_PKS1_S9_21rocsparse_index_base_22rocsparse_matrix_type_20rocsparse_fill_mode_23rocsparse_storage_mode_P22rocsparse_data_status_.numbered_sgpr, 25
	.set _ZN9rocsparseL23check_matrix_csr_deviceILj256ELj128EfllEEvT3_S1_T2_PKT1_PKS2_PKS1_S9_21rocsparse_index_base_22rocsparse_matrix_type_20rocsparse_fill_mode_23rocsparse_storage_mode_P22rocsparse_data_status_.num_named_barrier, 0
	.set _ZN9rocsparseL23check_matrix_csr_deviceILj256ELj128EfllEEvT3_S1_T2_PKT1_PKS2_PKS1_S9_21rocsparse_index_base_22rocsparse_matrix_type_20rocsparse_fill_mode_23rocsparse_storage_mode_P22rocsparse_data_status_.private_seg_size, 0
	.set _ZN9rocsparseL23check_matrix_csr_deviceILj256ELj128EfllEEvT3_S1_T2_PKT1_PKS2_PKS1_S9_21rocsparse_index_base_22rocsparse_matrix_type_20rocsparse_fill_mode_23rocsparse_storage_mode_P22rocsparse_data_status_.uses_vcc, 1
	.set _ZN9rocsparseL23check_matrix_csr_deviceILj256ELj128EfllEEvT3_S1_T2_PKT1_PKS2_PKS1_S9_21rocsparse_index_base_22rocsparse_matrix_type_20rocsparse_fill_mode_23rocsparse_storage_mode_P22rocsparse_data_status_.uses_flat_scratch, 0
	.set _ZN9rocsparseL23check_matrix_csr_deviceILj256ELj128EfllEEvT3_S1_T2_PKT1_PKS2_PKS1_S9_21rocsparse_index_base_22rocsparse_matrix_type_20rocsparse_fill_mode_23rocsparse_storage_mode_P22rocsparse_data_status_.has_dyn_sized_stack, 0
	.set _ZN9rocsparseL23check_matrix_csr_deviceILj256ELj128EfllEEvT3_S1_T2_PKT1_PKS2_PKS1_S9_21rocsparse_index_base_22rocsparse_matrix_type_20rocsparse_fill_mode_23rocsparse_storage_mode_P22rocsparse_data_status_.has_recursion, 0
	.set _ZN9rocsparseL23check_matrix_csr_deviceILj256ELj128EfllEEvT3_S1_T2_PKT1_PKS2_PKS1_S9_21rocsparse_index_base_22rocsparse_matrix_type_20rocsparse_fill_mode_23rocsparse_storage_mode_P22rocsparse_data_status_.has_indirect_call, 0
	.section	.AMDGPU.csdata,"",@progbits
; Kernel info:
; codeLenInByte = 1056
; TotalNumSgprs: 27
; NumVgprs: 24
; ScratchSize: 0
; MemoryBound: 0
; FloatMode: 240
; IeeeMode: 1
; LDSByteSize: 0 bytes/workgroup (compile time only)
; SGPRBlocks: 0
; VGPRBlocks: 1
; NumSGPRsForWavesPerEU: 27
; NumVGPRsForWavesPerEU: 24
; NamedBarCnt: 0
; Occupancy: 16
; WaveLimiterHint : 0
; COMPUTE_PGM_RSRC2:SCRATCH_EN: 0
; COMPUTE_PGM_RSRC2:USER_SGPR: 2
; COMPUTE_PGM_RSRC2:TRAP_HANDLER: 0
; COMPUTE_PGM_RSRC2:TGID_X_EN: 1
; COMPUTE_PGM_RSRC2:TGID_Y_EN: 0
; COMPUTE_PGM_RSRC2:TGID_Z_EN: 0
; COMPUTE_PGM_RSRC2:TIDIG_COMP_CNT: 0
	.section	.text._ZN9rocsparseL23check_matrix_csr_deviceILj256ELj256EfllEEvT3_S1_T2_PKT1_PKS2_PKS1_S9_21rocsparse_index_base_22rocsparse_matrix_type_20rocsparse_fill_mode_23rocsparse_storage_mode_P22rocsparse_data_status_,"axG",@progbits,_ZN9rocsparseL23check_matrix_csr_deviceILj256ELj256EfllEEvT3_S1_T2_PKT1_PKS2_PKS1_S9_21rocsparse_index_base_22rocsparse_matrix_type_20rocsparse_fill_mode_23rocsparse_storage_mode_P22rocsparse_data_status_,comdat
	.globl	_ZN9rocsparseL23check_matrix_csr_deviceILj256ELj256EfllEEvT3_S1_T2_PKT1_PKS2_PKS1_S9_21rocsparse_index_base_22rocsparse_matrix_type_20rocsparse_fill_mode_23rocsparse_storage_mode_P22rocsparse_data_status_ ; -- Begin function _ZN9rocsparseL23check_matrix_csr_deviceILj256ELj256EfllEEvT3_S1_T2_PKT1_PKS2_PKS1_S9_21rocsparse_index_base_22rocsparse_matrix_type_20rocsparse_fill_mode_23rocsparse_storage_mode_P22rocsparse_data_status_
	.p2align	8
	.type	_ZN9rocsparseL23check_matrix_csr_deviceILj256ELj256EfllEEvT3_S1_T2_PKT1_PKS2_PKS1_S9_21rocsparse_index_base_22rocsparse_matrix_type_20rocsparse_fill_mode_23rocsparse_storage_mode_P22rocsparse_data_status_,@function
_ZN9rocsparseL23check_matrix_csr_deviceILj256ELj256EfllEEvT3_S1_T2_PKT1_PKS2_PKS1_S9_21rocsparse_index_base_22rocsparse_matrix_type_20rocsparse_fill_mode_23rocsparse_storage_mode_P22rocsparse_data_status_: ; @_ZN9rocsparseL23check_matrix_csr_deviceILj256ELj256EfllEEvT3_S1_T2_PKT1_PKS2_PKS1_S9_21rocsparse_index_base_22rocsparse_matrix_type_20rocsparse_fill_mode_23rocsparse_storage_mode_P22rocsparse_data_status_
; %bb.0:
	s_load_b128 s[4:7], s[0:1], 0x0
	s_bfe_u32 s2, ttmp6, 0x4000c
	s_and_b32 s3, ttmp6, 15
	s_add_co_i32 s2, s2, 1
	s_getreg_b32 s8, hwreg(HW_REG_IB_STS2, 6, 4)
	s_mul_i32 s2, ttmp9, s2
	s_mov_b32 s9, 0
	s_add_co_i32 s3, s3, s2
	s_cmp_eq_u32 s8, 0
	s_cselect_b32 s2, ttmp9, s3
	s_mov_b32 s3, exec_lo
	s_and_b32 s8, s2, 0xffffff
	s_wait_kmcnt 0x0
	v_cmpx_gt_i64_e64 s[4:5], s[8:9]
	s_cbranch_execz .LBB68_31
; %bb.1:
	s_load_b64 s[2:3], s[0:1], 0x20
	v_mov_b64_e32 v[2:3], s[8:9]
	s_delay_alu instid0(VALU_DEP_1)
	v_dual_mov_b32 v16, 3 :: v_dual_lshlrev_b32 v1, 3, v2
	s_wait_kmcnt 0x0
	global_load_b128 v[6:9], v1, s[2:3]
	s_wait_xcnt 0x0
	s_load_b64 s[2:3], s[2:3], 0x0
	s_wait_loadcnt 0x0
	s_wait_kmcnt 0x0
	v_sub_nc_u64_e64 v[2:3], v[8:9], s[2:3]
	v_sub_nc_u64_e64 v[4:5], v[6:7], s[2:3]
	v_cmp_lt_i64_e64 s2, v[8:9], v[6:7]
	s_delay_alu instid0(VALU_DEP_3) | instskip(NEXT) | instid1(VALU_DEP_3)
	v_cmp_gt_i64_e32 vcc_lo, 0, v[2:3]
	v_cmp_lt_i64_e64 s3, -1, v[4:5]
	s_or_b32 s2, vcc_lo, s2
	s_delay_alu instid0(SALU_CYCLE_1) | instskip(SKIP_2) | instid1(SALU_CYCLE_1)
	s_xor_b32 s4, s2, -1
	s_mov_b32 s2, -1
	s_and_b32 s3, s3, s4
	s_and_saveexec_b32 s10, s3
	s_cbranch_execz .LBB68_29
; %bb.2:
	v_dual_mov_b32 v1, 0 :: v_dual_mov_b32 v16, 3
	s_mov_b32 s2, 0
	s_mov_b32 s11, exec_lo
	s_delay_alu instid0(VALU_DEP_1) | instskip(NEXT) | instid1(VALU_DEP_1)
	v_add_nc_u64_e32 v[0:1], v[4:5], v[0:1]
	v_cmpx_lt_u64_e64 v[0:1], v[2:3]
	s_cbranch_execz .LBB68_28
; %bb.3:
	s_clause 0x1
	s_load_b256 s[16:23], s[0:1], 0x28
	s_load_b64 s[2:3], s[0:1], 0x18
	v_lshlrev_b64_e32 v[8:9], 3, v[0:1]
	s_mov_b32 s5, 0
	s_delay_alu instid0(SALU_CYCLE_1) | instskip(SKIP_1) | instid1(VALU_DEP_1)
	s_mov_b32 s15, s5
	s_wait_kmcnt 0x0
	v_add_nc_u64_e32 v[6:7], s[18:19], v[8:9]
	s_cmp_lg_u32 s21, 0
	v_add_nc_u64_e32 v[8:9], s[16:17], v[8:9]
	s_cselect_b32 s12, -1, 0
	s_cmp_lg_u32 s22, 0
	v_lshl_add_u64 v[10:11], v[0:1], 2, s[2:3]
	s_cselect_b32 s13, -1, 0
	v_add_nc_u64_e32 v[6:7], -8, v[6:7]
	s_cmp_lg_u32 s23, 0
	s_mov_b32 s4, s20
	s_cselect_b32 s14, -1, 0
                                        ; implicit-def: $sgpr16
                                        ; implicit-def: $sgpr17
                                        ; implicit-def: $sgpr18
	s_branch .LBB68_10
.LBB68_4:                               ;   in Loop: Header=BB68_10 Depth=1
	s_or_b32 exec_lo, exec_lo, s3
	s_delay_alu instid0(SALU_CYCLE_1)
	s_or_not1_b32 s26, s2, exec_lo
	s_or_not1_b32 s2, s23, exec_lo
.LBB68_5:                               ;   in Loop: Header=BB68_10 Depth=1
	s_or_b32 exec_lo, exec_lo, s24
	s_delay_alu instid0(SALU_CYCLE_1)
	s_or_not1_b32 s3, s26, exec_lo
	s_or_not1_b32 s2, s2, exec_lo
.LBB68_6:                               ;   in Loop: Header=BB68_10 Depth=1
	s_or_b32 exec_lo, exec_lo, s22
	s_delay_alu instid0(SALU_CYCLE_1)
	s_or_not1_b32 s3, s3, exec_lo
	s_or_not1_b32 s2, s2, exec_lo
.LBB68_7:                               ;   in Loop: Header=BB68_10 Depth=1
	s_or_b32 exec_lo, exec_lo, s21
	s_delay_alu instid0(SALU_CYCLE_1)
	s_or_not1_b32 s3, s3, exec_lo
	s_or_not1_b32 s2, s2, exec_lo
.LBB68_8:                               ;   in Loop: Header=BB68_10 Depth=1
	s_or_b32 exec_lo, exec_lo, s20
	s_delay_alu instid0(SALU_CYCLE_1)
	s_and_not1_b32 s18, s18, exec_lo
	s_and_b32 s3, s3, exec_lo
	s_and_not1_b32 s17, s17, exec_lo
	s_and_b32 s2, s2, exec_lo
	s_or_b32 s18, s18, s3
	s_or_b32 s17, s17, s2
.LBB68_9:                               ;   in Loop: Header=BB68_10 Depth=1
	s_or_b32 exec_lo, exec_lo, s19
	s_delay_alu instid0(SALU_CYCLE_1) | instskip(NEXT) | instid1(SALU_CYCLE_1)
	s_and_b32 s2, exec_lo, s17
	s_or_b32 s15, s2, s15
	s_and_not1_b32 s2, s16, exec_lo
	s_and_b32 s3, s18, exec_lo
	s_delay_alu instid0(SALU_CYCLE_1)
	s_or_b32 s16, s2, s3
	s_and_not1_b32 exec_lo, exec_lo, s15
	s_cbranch_execz .LBB68_27
.LBB68_10:                              ; =>This Inner Loop Header: Depth=1
	global_load_b64 v[12:13], v[8:9], off
	v_mov_b32_e32 v16, 4
	s_or_b32 s18, s18, exec_lo
	s_or_b32 s17, s17, exec_lo
	s_wait_loadcnt 0x0
	v_sub_nc_u64_e64 v[14:15], v[12:13], s[4:5]
	s_delay_alu instid0(VALU_DEP_1) | instskip(SKIP_2) | instid1(SALU_CYCLE_1)
	v_cmp_lt_i64_e32 vcc_lo, -1, v[14:15]
	v_cmp_gt_i64_e64 s2, s[6:7], v[14:15]
	s_and_b32 s2, vcc_lo, s2
	s_and_saveexec_b32 s19, s2
	s_cbranch_execz .LBB68_9
; %bb.11:                               ;   in Loop: Header=BB68_10 Depth=1
	v_cmp_le_i64_e64 s23, v[0:1], v[4:5]
	v_mov_b32_e32 v16, 4
	s_mov_b32 s20, exec_lo
	s_mov_b32 s21, s23
	v_cmpx_gt_i64_e64 v[0:1], v[4:5]
	s_cbranch_execz .LBB68_13
; %bb.12:                               ;   in Loop: Header=BB68_10 Depth=1
	global_load_b128 v[16:19], v[6:7], off
	s_wait_loadcnt 0x0
	v_sub_nc_u64_e64 v[20:21], v[16:17], s[4:5]
	v_cmp_ne_u64_e64 s3, v[18:19], v[16:17]
	v_mov_b32_e32 v16, 5
	s_delay_alu instid0(VALU_DEP_3) | instskip(SKIP_2) | instid1(SALU_CYCLE_1)
	v_cmp_lt_i64_e32 vcc_lo, -1, v[20:21]
	v_cmp_gt_i64_e64 s2, s[6:7], v[20:21]
	s_and_b32 s2, vcc_lo, s2
	s_xor_b32 s2, s2, -1
	s_delay_alu instid0(SALU_CYCLE_1) | instskip(SKIP_2) | instid1(SALU_CYCLE_1)
	s_or_b32 s2, s3, s2
	s_and_not1_b32 s3, s23, exec_lo
	s_and_b32 s2, s2, exec_lo
	s_or_b32 s21, s3, s2
.LBB68_13:                              ;   in Loop: Header=BB68_10 Depth=1
	s_or_b32 exec_lo, exec_lo, s20
	s_mov_b32 s2, -1
	s_mov_b32 s3, -1
	s_and_saveexec_b32 s20, s21
	s_cbranch_execz .LBB68_8
; %bb.14:                               ;   in Loop: Header=BB68_10 Depth=1
	global_load_b32 v17, v[10:11], off
	v_mov_b32_e32 v16, 1
	s_mov_b32 s21, exec_lo
	s_wait_loadcnt 0x0
	v_cmpx_neq_f32_e32 0x7f800000, v17
	s_cbranch_execz .LBB68_7
; %bb.15:                               ;   in Loop: Header=BB68_10 Depth=1
	v_mov_b32_e32 v16, 2
	s_mov_b32 s22, exec_lo
	v_cmpx_o_f32_e32 v17, v17
	s_cbranch_execz .LBB68_6
; %bb.16:                               ;   in Loop: Header=BB68_10 Depth=1
	s_and_b32 vcc_lo, exec_lo, s12
	s_cbranch_vccz .LBB68_19
; %bb.17:                               ;   in Loop: Header=BB68_10 Depth=1
	s_and_b32 vcc_lo, exec_lo, s13
	s_cbranch_vccz .LBB68_20
; %bb.18:                               ;   in Loop: Header=BB68_10 Depth=1
	v_cmp_le_i64_e32 vcc_lo, s[8:9], v[14:15]
	s_mov_b32 s3, 7
	s_and_b32 s25, vcc_lo, exec_lo
	s_cbranch_execz .LBB68_21
	s_branch .LBB68_22
.LBB68_19:                              ;   in Loop: Header=BB68_10 Depth=1
	s_mov_b32 s3, 2
	s_mov_b32 s25, -1
	s_branch .LBB68_22
.LBB68_20:                              ;   in Loop: Header=BB68_10 Depth=1
	s_mov_b32 s25, 0
	s_mov_b32 s3, 2
.LBB68_21:                              ;   in Loop: Header=BB68_10 Depth=1
	v_cmp_ge_i64_e32 vcc_lo, s[8:9], v[14:15]
	s_and_not1_b32 s24, s25, exec_lo
	s_mov_b32 s3, 7
	s_and_b32 s25, vcc_lo, exec_lo
	s_delay_alu instid0(SALU_CYCLE_1)
	s_or_b32 s25, s24, s25
.LBB68_22:                              ;   in Loop: Header=BB68_10 Depth=1
	v_mov_b32_e32 v16, s3
	s_mov_b32 s26, -1
	s_and_saveexec_b32 s24, s25
	s_cbranch_execz .LBB68_5
; %bb.23:                               ;   in Loop: Header=BB68_10 Depth=1
	v_mov_b32_e32 v16, s3
	s_nor_b32 s2, s14, s23
	s_mov_b32 s23, -1
	s_and_saveexec_b32 s25, s2
	s_cbranch_execz .LBB68_25
; %bb.24:                               ;   in Loop: Header=BB68_10 Depth=1
	global_load_b64 v[14:15], v[8:9], off offset:-8
	s_wait_loadcnt 0x0
	v_sub_nc_u64_e64 v[16:17], v[14:15], s[4:5]
	v_cmp_gt_i64_e64 s3, v[12:13], v[14:15]
	s_delay_alu instid0(VALU_DEP_2) | instskip(SKIP_3) | instid1(SALU_CYCLE_1)
	v_cmp_lt_i64_e32 vcc_lo, -1, v[16:17]
	v_cmp_gt_i64_e64 s2, s[6:7], v[16:17]
	v_mov_b32_e32 v16, 6
	s_and_b32 s2, vcc_lo, s2
	s_xor_b32 s2, s2, -1
	s_delay_alu instid0(SALU_CYCLE_1) | instskip(NEXT) | instid1(SALU_CYCLE_1)
	s_or_b32 s2, s3, s2
	s_or_not1_b32 s26, s2, exec_lo
.LBB68_25:                              ;   in Loop: Header=BB68_10 Depth=1
	s_or_b32 exec_lo, exec_lo, s25
	s_mov_b32 s2, -1
	s_and_saveexec_b32 s3, s26
	s_cbranch_execz .LBB68_4
; %bb.26:                               ;   in Loop: Header=BB68_10 Depth=1
	v_add_nc_u64_e32 v[0:1], 0x100, v[0:1]
	v_add_nc_u64_e32 v[6:7], 0x800, v[6:7]
	;; [unrolled: 1-line block ×4, first 2 shown]
	s_xor_b32 s2, exec_lo, -1
	s_delay_alu instid0(VALU_DEP_4)
	v_cmp_ge_i64_e32 vcc_lo, v[0:1], v[2:3]
	s_or_not1_b32 s23, vcc_lo, exec_lo
	s_branch .LBB68_4
.LBB68_27:
	s_or_b32 exec_lo, exec_lo, s15
	s_delay_alu instid0(SALU_CYCLE_1)
	s_and_b32 s2, s16, exec_lo
.LBB68_28:
	s_or_b32 exec_lo, exec_lo, s11
	s_delay_alu instid0(SALU_CYCLE_1)
	s_or_not1_b32 s2, s2, exec_lo
.LBB68_29:
	s_or_b32 exec_lo, exec_lo, s10
	s_delay_alu instid0(SALU_CYCLE_1)
	s_and_b32 exec_lo, exec_lo, s2
	s_cbranch_execz .LBB68_31
; %bb.30:
	s_load_b64 s[0:1], s[0:1], 0x48
	v_mov_b32_e32 v0, 0
	s_wait_kmcnt 0x0
	global_store_b32 v0, v16, s[0:1]
.LBB68_31:
	s_endpgm
	.section	.rodata,"a",@progbits
	.p2align	6, 0x0
	.amdhsa_kernel _ZN9rocsparseL23check_matrix_csr_deviceILj256ELj256EfllEEvT3_S1_T2_PKT1_PKS2_PKS1_S9_21rocsparse_index_base_22rocsparse_matrix_type_20rocsparse_fill_mode_23rocsparse_storage_mode_P22rocsparse_data_status_
		.amdhsa_group_segment_fixed_size 0
		.amdhsa_private_segment_fixed_size 0
		.amdhsa_kernarg_size 80
		.amdhsa_user_sgpr_count 2
		.amdhsa_user_sgpr_dispatch_ptr 0
		.amdhsa_user_sgpr_queue_ptr 0
		.amdhsa_user_sgpr_kernarg_segment_ptr 1
		.amdhsa_user_sgpr_dispatch_id 0
		.amdhsa_user_sgpr_kernarg_preload_length 0
		.amdhsa_user_sgpr_kernarg_preload_offset 0
		.amdhsa_user_sgpr_private_segment_size 0
		.amdhsa_wavefront_size32 1
		.amdhsa_uses_dynamic_stack 0
		.amdhsa_enable_private_segment 0
		.amdhsa_system_sgpr_workgroup_id_x 1
		.amdhsa_system_sgpr_workgroup_id_y 0
		.amdhsa_system_sgpr_workgroup_id_z 0
		.amdhsa_system_sgpr_workgroup_info 0
		.amdhsa_system_vgpr_workitem_id 0
		.amdhsa_next_free_vgpr 22
		.amdhsa_next_free_sgpr 27
		.amdhsa_named_barrier_count 0
		.amdhsa_reserve_vcc 1
		.amdhsa_float_round_mode_32 0
		.amdhsa_float_round_mode_16_64 0
		.amdhsa_float_denorm_mode_32 3
		.amdhsa_float_denorm_mode_16_64 3
		.amdhsa_fp16_overflow 0
		.amdhsa_memory_ordered 1
		.amdhsa_forward_progress 1
		.amdhsa_inst_pref_size 9
		.amdhsa_round_robin_scheduling 0
		.amdhsa_exception_fp_ieee_invalid_op 0
		.amdhsa_exception_fp_denorm_src 0
		.amdhsa_exception_fp_ieee_div_zero 0
		.amdhsa_exception_fp_ieee_overflow 0
		.amdhsa_exception_fp_ieee_underflow 0
		.amdhsa_exception_fp_ieee_inexact 0
		.amdhsa_exception_int_div_zero 0
	.end_amdhsa_kernel
	.section	.text._ZN9rocsparseL23check_matrix_csr_deviceILj256ELj256EfllEEvT3_S1_T2_PKT1_PKS2_PKS1_S9_21rocsparse_index_base_22rocsparse_matrix_type_20rocsparse_fill_mode_23rocsparse_storage_mode_P22rocsparse_data_status_,"axG",@progbits,_ZN9rocsparseL23check_matrix_csr_deviceILj256ELj256EfllEEvT3_S1_T2_PKT1_PKS2_PKS1_S9_21rocsparse_index_base_22rocsparse_matrix_type_20rocsparse_fill_mode_23rocsparse_storage_mode_P22rocsparse_data_status_,comdat
.Lfunc_end68:
	.size	_ZN9rocsparseL23check_matrix_csr_deviceILj256ELj256EfllEEvT3_S1_T2_PKT1_PKS2_PKS1_S9_21rocsparse_index_base_22rocsparse_matrix_type_20rocsparse_fill_mode_23rocsparse_storage_mode_P22rocsparse_data_status_, .Lfunc_end68-_ZN9rocsparseL23check_matrix_csr_deviceILj256ELj256EfllEEvT3_S1_T2_PKT1_PKS2_PKS1_S9_21rocsparse_index_base_22rocsparse_matrix_type_20rocsparse_fill_mode_23rocsparse_storage_mode_P22rocsparse_data_status_
                                        ; -- End function
	.set _ZN9rocsparseL23check_matrix_csr_deviceILj256ELj256EfllEEvT3_S1_T2_PKT1_PKS2_PKS1_S9_21rocsparse_index_base_22rocsparse_matrix_type_20rocsparse_fill_mode_23rocsparse_storage_mode_P22rocsparse_data_status_.num_vgpr, 22
	.set _ZN9rocsparseL23check_matrix_csr_deviceILj256ELj256EfllEEvT3_S1_T2_PKT1_PKS2_PKS1_S9_21rocsparse_index_base_22rocsparse_matrix_type_20rocsparse_fill_mode_23rocsparse_storage_mode_P22rocsparse_data_status_.num_agpr, 0
	.set _ZN9rocsparseL23check_matrix_csr_deviceILj256ELj256EfllEEvT3_S1_T2_PKT1_PKS2_PKS1_S9_21rocsparse_index_base_22rocsparse_matrix_type_20rocsparse_fill_mode_23rocsparse_storage_mode_P22rocsparse_data_status_.numbered_sgpr, 27
	.set _ZN9rocsparseL23check_matrix_csr_deviceILj256ELj256EfllEEvT3_S1_T2_PKT1_PKS2_PKS1_S9_21rocsparse_index_base_22rocsparse_matrix_type_20rocsparse_fill_mode_23rocsparse_storage_mode_P22rocsparse_data_status_.num_named_barrier, 0
	.set _ZN9rocsparseL23check_matrix_csr_deviceILj256ELj256EfllEEvT3_S1_T2_PKT1_PKS2_PKS1_S9_21rocsparse_index_base_22rocsparse_matrix_type_20rocsparse_fill_mode_23rocsparse_storage_mode_P22rocsparse_data_status_.private_seg_size, 0
	.set _ZN9rocsparseL23check_matrix_csr_deviceILj256ELj256EfllEEvT3_S1_T2_PKT1_PKS2_PKS1_S9_21rocsparse_index_base_22rocsparse_matrix_type_20rocsparse_fill_mode_23rocsparse_storage_mode_P22rocsparse_data_status_.uses_vcc, 1
	.set _ZN9rocsparseL23check_matrix_csr_deviceILj256ELj256EfllEEvT3_S1_T2_PKT1_PKS2_PKS1_S9_21rocsparse_index_base_22rocsparse_matrix_type_20rocsparse_fill_mode_23rocsparse_storage_mode_P22rocsparse_data_status_.uses_flat_scratch, 0
	.set _ZN9rocsparseL23check_matrix_csr_deviceILj256ELj256EfllEEvT3_S1_T2_PKT1_PKS2_PKS1_S9_21rocsparse_index_base_22rocsparse_matrix_type_20rocsparse_fill_mode_23rocsparse_storage_mode_P22rocsparse_data_status_.has_dyn_sized_stack, 0
	.set _ZN9rocsparseL23check_matrix_csr_deviceILj256ELj256EfllEEvT3_S1_T2_PKT1_PKS2_PKS1_S9_21rocsparse_index_base_22rocsparse_matrix_type_20rocsparse_fill_mode_23rocsparse_storage_mode_P22rocsparse_data_status_.has_recursion, 0
	.set _ZN9rocsparseL23check_matrix_csr_deviceILj256ELj256EfllEEvT3_S1_T2_PKT1_PKS2_PKS1_S9_21rocsparse_index_base_22rocsparse_matrix_type_20rocsparse_fill_mode_23rocsparse_storage_mode_P22rocsparse_data_status_.has_indirect_call, 0
	.section	.AMDGPU.csdata,"",@progbits
; Kernel info:
; codeLenInByte = 1044
; TotalNumSgprs: 29
; NumVgprs: 22
; ScratchSize: 0
; MemoryBound: 0
; FloatMode: 240
; IeeeMode: 1
; LDSByteSize: 0 bytes/workgroup (compile time only)
; SGPRBlocks: 0
; VGPRBlocks: 1
; NumSGPRsForWavesPerEU: 29
; NumVGPRsForWavesPerEU: 22
; NamedBarCnt: 0
; Occupancy: 16
; WaveLimiterHint : 0
; COMPUTE_PGM_RSRC2:SCRATCH_EN: 0
; COMPUTE_PGM_RSRC2:USER_SGPR: 2
; COMPUTE_PGM_RSRC2:TRAP_HANDLER: 0
; COMPUTE_PGM_RSRC2:TGID_X_EN: 1
; COMPUTE_PGM_RSRC2:TGID_Y_EN: 0
; COMPUTE_PGM_RSRC2:TGID_Z_EN: 0
; COMPUTE_PGM_RSRC2:TIDIG_COMP_CNT: 0
	.section	.text._ZN9rocsparseL23check_matrix_csr_deviceILj256ELj4EdllEEvT3_S1_T2_PKT1_PKS2_PKS1_S9_21rocsparse_index_base_22rocsparse_matrix_type_20rocsparse_fill_mode_23rocsparse_storage_mode_P22rocsparse_data_status_,"axG",@progbits,_ZN9rocsparseL23check_matrix_csr_deviceILj256ELj4EdllEEvT3_S1_T2_PKT1_PKS2_PKS1_S9_21rocsparse_index_base_22rocsparse_matrix_type_20rocsparse_fill_mode_23rocsparse_storage_mode_P22rocsparse_data_status_,comdat
	.globl	_ZN9rocsparseL23check_matrix_csr_deviceILj256ELj4EdllEEvT3_S1_T2_PKT1_PKS2_PKS1_S9_21rocsparse_index_base_22rocsparse_matrix_type_20rocsparse_fill_mode_23rocsparse_storage_mode_P22rocsparse_data_status_ ; -- Begin function _ZN9rocsparseL23check_matrix_csr_deviceILj256ELj4EdllEEvT3_S1_T2_PKT1_PKS2_PKS1_S9_21rocsparse_index_base_22rocsparse_matrix_type_20rocsparse_fill_mode_23rocsparse_storage_mode_P22rocsparse_data_status_
	.p2align	8
	.type	_ZN9rocsparseL23check_matrix_csr_deviceILj256ELj4EdllEEvT3_S1_T2_PKT1_PKS2_PKS1_S9_21rocsparse_index_base_22rocsparse_matrix_type_20rocsparse_fill_mode_23rocsparse_storage_mode_P22rocsparse_data_status_,@function
_ZN9rocsparseL23check_matrix_csr_deviceILj256ELj4EdllEEvT3_S1_T2_PKT1_PKS2_PKS1_S9_21rocsparse_index_base_22rocsparse_matrix_type_20rocsparse_fill_mode_23rocsparse_storage_mode_P22rocsparse_data_status_: ; @_ZN9rocsparseL23check_matrix_csr_deviceILj256ELj4EdllEEvT3_S1_T2_PKT1_PKS2_PKS1_S9_21rocsparse_index_base_22rocsparse_matrix_type_20rocsparse_fill_mode_23rocsparse_storage_mode_P22rocsparse_data_status_
; %bb.0:
	s_bfe_u32 s2, ttmp6, 0x4000c
	s_load_b128 s[4:7], s[0:1], 0x0
	s_add_co_i32 s2, s2, 1
	s_and_b32 s3, ttmp6, 15
	s_mul_i32 s2, ttmp9, s2
	s_getreg_b32 s8, hwreg(HW_REG_IB_STS2, 6, 4)
	s_add_co_i32 s3, s3, s2
	s_cmp_eq_u32 s8, 0
	v_mov_b32_e32 v3, 0
	s_cselect_b32 s2, ttmp9, s3
	s_delay_alu instid0(SALU_CYCLE_1) | instskip(SKIP_1) | instid1(VALU_DEP_1)
	v_lshl_or_b32 v1, s2, 8, v0
	s_mov_b32 s2, exec_lo
	v_lshrrev_b32_e32 v2, 2, v1
	s_wait_kmcnt 0x0
	s_delay_alu instid0(VALU_DEP_1)
	v_cmpx_gt_i64_e64 s[4:5], v[2:3]
	s_cbranch_execz .LBB69_31
; %bb.1:
	s_load_b64 s[2:3], s[0:1], 0x20
	v_mov_b32_e32 v20, 3
	s_wait_kmcnt 0x0
	v_lshl_add_u64 v[4:5], v[2:3], 3, s[2:3]
	s_load_b64 s[2:3], s[2:3], 0x0
	global_load_b128 v[8:11], v[4:5], off
	s_wait_loadcnt 0x0
	s_wait_kmcnt 0x0
	v_sub_nc_u64_e64 v[4:5], v[10:11], s[2:3]
	v_sub_nc_u64_e64 v[6:7], v[8:9], s[2:3]
	v_cmp_lt_i64_e64 s2, v[10:11], v[8:9]
	s_delay_alu instid0(VALU_DEP_3) | instskip(NEXT) | instid1(VALU_DEP_3)
	v_cmp_gt_i64_e32 vcc_lo, 0, v[4:5]
	v_cmp_lt_i64_e64 s3, -1, v[6:7]
	s_or_b32 s2, vcc_lo, s2
	s_delay_alu instid0(SALU_CYCLE_1) | instskip(SKIP_2) | instid1(SALU_CYCLE_1)
	s_xor_b32 s4, s2, -1
	s_mov_b32 s2, -1
	s_and_b32 s3, s3, s4
	s_and_saveexec_b32 s8, s3
	s_cbranch_execz .LBB69_29
; %bb.2:
	v_dual_mov_b32 v1, 0 :: v_dual_bitop2_b32 v0, 3, v0 bitop3:0x40
	v_mov_b32_e32 v20, 3
	s_mov_b32 s2, 0
	s_mov_b32 s9, exec_lo
	s_delay_alu instid0(VALU_DEP_2) | instskip(NEXT) | instid1(VALU_DEP_1)
	v_add_nc_u64_e32 v[0:1], v[6:7], v[0:1]
	v_cmpx_lt_u64_e64 v[0:1], v[4:5]
	s_cbranch_execz .LBB69_28
; %bb.3:
	s_clause 0x1
	s_load_b256 s[12:19], s[0:1], 0x28
	s_load_b64 s[2:3], s[0:1], 0x18
	v_lshlrev_b64_e32 v[12:13], 3, v[0:1]
	s_mov_b32 s5, 0
	s_wait_kmcnt 0x0
	s_delay_alu instid0(VALU_DEP_1)
	v_add_nc_u64_e32 v[10:11], s[14:15], v[12:13]
	s_cmp_lg_u32 s17, 0
	v_add_nc_u64_e32 v[8:9], s[2:3], v[12:13]
	v_add_nc_u64_e32 v[12:13], s[12:13], v[12:13]
	s_cselect_b32 s10, -1, 0
	s_cmp_lg_u32 s18, 0
	s_mov_b32 s4, s16
	v_add_nc_u64_e32 v[10:11], -8, v[10:11]
	s_cselect_b32 s11, -1, 0
	s_cmp_lg_u32 s19, 0
	s_mov_b32 s13, s5
	s_cselect_b32 s12, -1, 0
                                        ; implicit-def: $sgpr14
                                        ; implicit-def: $sgpr15
                                        ; implicit-def: $sgpr16
	s_branch .LBB69_10
.LBB69_4:                               ;   in Loop: Header=BB69_10 Depth=1
	s_or_b32 exec_lo, exec_lo, s3
	s_delay_alu instid0(SALU_CYCLE_1)
	s_or_not1_b32 s24, s2, exec_lo
	s_or_not1_b32 s2, s21, exec_lo
.LBB69_5:                               ;   in Loop: Header=BB69_10 Depth=1
	s_or_b32 exec_lo, exec_lo, s22
	s_delay_alu instid0(SALU_CYCLE_1)
	s_or_not1_b32 s3, s24, exec_lo
	s_or_not1_b32 s2, s2, exec_lo
.LBB69_6:                               ;   in Loop: Header=BB69_10 Depth=1
	s_or_b32 exec_lo, exec_lo, s20
	s_delay_alu instid0(SALU_CYCLE_1)
	s_or_not1_b32 s3, s3, exec_lo
	s_or_not1_b32 s2, s2, exec_lo
.LBB69_7:                               ;   in Loop: Header=BB69_10 Depth=1
	s_or_b32 exec_lo, exec_lo, s19
	s_delay_alu instid0(SALU_CYCLE_1)
	s_or_not1_b32 s3, s3, exec_lo
	s_or_not1_b32 s2, s2, exec_lo
.LBB69_8:                               ;   in Loop: Header=BB69_10 Depth=1
	s_or_b32 exec_lo, exec_lo, s18
	s_delay_alu instid0(SALU_CYCLE_1)
	s_and_not1_b32 s16, s16, exec_lo
	s_and_b32 s3, s3, exec_lo
	s_and_not1_b32 s15, s15, exec_lo
	s_and_b32 s2, s2, exec_lo
	s_or_b32 s16, s16, s3
	s_or_b32 s15, s15, s2
.LBB69_9:                               ;   in Loop: Header=BB69_10 Depth=1
	s_or_b32 exec_lo, exec_lo, s17
	s_delay_alu instid0(SALU_CYCLE_1) | instskip(NEXT) | instid1(SALU_CYCLE_1)
	s_and_b32 s2, exec_lo, s15
	s_or_b32 s13, s2, s13
	s_and_not1_b32 s2, s14, exec_lo
	s_and_b32 s3, s16, exec_lo
	s_delay_alu instid0(SALU_CYCLE_1)
	s_or_b32 s14, s2, s3
	s_and_not1_b32 exec_lo, exec_lo, s13
	s_cbranch_execz .LBB69_27
.LBB69_10:                              ; =>This Inner Loop Header: Depth=1
	global_load_b64 v[14:15], v[12:13], off
	v_mov_b32_e32 v20, 4
	s_or_b32 s16, s16, exec_lo
	s_or_b32 s15, s15, exec_lo
	s_wait_loadcnt 0x0
	v_sub_nc_u64_e64 v[16:17], v[14:15], s[4:5]
	s_delay_alu instid0(VALU_DEP_1) | instskip(SKIP_2) | instid1(SALU_CYCLE_1)
	v_cmp_lt_i64_e32 vcc_lo, -1, v[16:17]
	v_cmp_gt_i64_e64 s2, s[6:7], v[16:17]
	s_and_b32 s2, vcc_lo, s2
	s_and_saveexec_b32 s17, s2
	s_cbranch_execz .LBB69_9
; %bb.11:                               ;   in Loop: Header=BB69_10 Depth=1
	v_cmp_le_i64_e64 s21, v[0:1], v[6:7]
	v_mov_b32_e32 v20, 4
	s_mov_b32 s18, exec_lo
	s_mov_b32 s19, s21
	v_cmpx_gt_i64_e64 v[0:1], v[6:7]
	s_cbranch_execz .LBB69_13
; %bb.12:                               ;   in Loop: Header=BB69_10 Depth=1
	global_load_b128 v[18:21], v[10:11], off
	s_wait_loadcnt 0x0
	v_sub_nc_u64_e64 v[22:23], v[18:19], s[4:5]
	v_cmp_ne_u64_e64 s3, v[20:21], v[18:19]
	v_mov_b32_e32 v20, 5
	s_delay_alu instid0(VALU_DEP_3) | instskip(SKIP_2) | instid1(SALU_CYCLE_1)
	v_cmp_lt_i64_e32 vcc_lo, -1, v[22:23]
	v_cmp_gt_i64_e64 s2, s[6:7], v[22:23]
	s_and_b32 s2, vcc_lo, s2
	s_xor_b32 s2, s2, -1
	s_delay_alu instid0(SALU_CYCLE_1) | instskip(SKIP_2) | instid1(SALU_CYCLE_1)
	s_or_b32 s2, s3, s2
	s_and_not1_b32 s3, s21, exec_lo
	s_and_b32 s2, s2, exec_lo
	s_or_b32 s19, s3, s2
.LBB69_13:                              ;   in Loop: Header=BB69_10 Depth=1
	s_or_b32 exec_lo, exec_lo, s18
	s_mov_b32 s2, -1
	s_mov_b32 s3, -1
	s_and_saveexec_b32 s18, s19
	s_cbranch_execz .LBB69_8
; %bb.14:                               ;   in Loop: Header=BB69_10 Depth=1
	global_load_b64 v[18:19], v[8:9], off
	v_mov_b32_e32 v20, 1
	s_mov_b32 s19, exec_lo
	s_wait_loadcnt 0x0
	v_cmpx_neq_f64_e32 0x7ff00000, v[18:19]
	s_cbranch_execz .LBB69_7
; %bb.15:                               ;   in Loop: Header=BB69_10 Depth=1
	v_mov_b32_e32 v20, 2
	s_mov_b32 s20, exec_lo
	v_cmpx_o_f64_e32 v[18:19], v[18:19]
	s_cbranch_execz .LBB69_6
; %bb.16:                               ;   in Loop: Header=BB69_10 Depth=1
	s_and_b32 vcc_lo, exec_lo, s10
	s_cbranch_vccz .LBB69_19
; %bb.17:                               ;   in Loop: Header=BB69_10 Depth=1
	s_and_b32 vcc_lo, exec_lo, s11
	s_cbranch_vccz .LBB69_20
; %bb.18:                               ;   in Loop: Header=BB69_10 Depth=1
	v_cmp_ge_i64_e32 vcc_lo, v[16:17], v[2:3]
	s_mov_b32 s3, 7
	s_and_b32 s23, vcc_lo, exec_lo
	s_cbranch_execz .LBB69_21
	s_branch .LBB69_22
.LBB69_19:                              ;   in Loop: Header=BB69_10 Depth=1
	s_mov_b32 s3, 2
	s_mov_b32 s23, -1
	s_branch .LBB69_22
.LBB69_20:                              ;   in Loop: Header=BB69_10 Depth=1
	s_mov_b32 s23, 0
	s_mov_b32 s3, 2
.LBB69_21:                              ;   in Loop: Header=BB69_10 Depth=1
	v_cmp_le_i64_e32 vcc_lo, v[16:17], v[2:3]
	s_and_not1_b32 s22, s23, exec_lo
	s_mov_b32 s3, 7
	s_and_b32 s23, vcc_lo, exec_lo
	s_delay_alu instid0(SALU_CYCLE_1)
	s_or_b32 s23, s22, s23
.LBB69_22:                              ;   in Loop: Header=BB69_10 Depth=1
	v_mov_b32_e32 v20, s3
	s_mov_b32 s24, -1
	s_and_saveexec_b32 s22, s23
	s_cbranch_execz .LBB69_5
; %bb.23:                               ;   in Loop: Header=BB69_10 Depth=1
	v_mov_b32_e32 v20, s3
	s_nor_b32 s2, s12, s21
	s_mov_b32 s21, -1
	s_and_saveexec_b32 s23, s2
	s_cbranch_execz .LBB69_25
; %bb.24:                               ;   in Loop: Header=BB69_10 Depth=1
	global_load_b64 v[16:17], v[12:13], off offset:-8
	v_mov_b32_e32 v20, 6
	s_wait_loadcnt 0x0
	v_sub_nc_u64_e64 v[18:19], v[16:17], s[4:5]
	v_cmp_gt_i64_e64 s3, v[14:15], v[16:17]
	s_delay_alu instid0(VALU_DEP_2) | instskip(SKIP_2) | instid1(SALU_CYCLE_1)
	v_cmp_lt_i64_e32 vcc_lo, -1, v[18:19]
	v_cmp_gt_i64_e64 s2, s[6:7], v[18:19]
	s_and_b32 s2, vcc_lo, s2
	s_xor_b32 s2, s2, -1
	s_delay_alu instid0(SALU_CYCLE_1) | instskip(NEXT) | instid1(SALU_CYCLE_1)
	s_or_b32 s2, s3, s2
	s_or_not1_b32 s24, s2, exec_lo
.LBB69_25:                              ;   in Loop: Header=BB69_10 Depth=1
	s_or_b32 exec_lo, exec_lo, s23
	s_mov_b32 s2, -1
	s_and_saveexec_b32 s3, s24
	s_cbranch_execz .LBB69_4
; %bb.26:                               ;   in Loop: Header=BB69_10 Depth=1
	v_add_nc_u64_e32 v[0:1], 4, v[0:1]
	v_add_nc_u64_e32 v[10:11], 32, v[10:11]
	;; [unrolled: 1-line block ×4, first 2 shown]
	s_xor_b32 s2, exec_lo, -1
	s_delay_alu instid0(VALU_DEP_4)
	v_cmp_ge_i64_e32 vcc_lo, v[0:1], v[4:5]
	s_or_not1_b32 s21, vcc_lo, exec_lo
	s_branch .LBB69_4
.LBB69_27:
	s_or_b32 exec_lo, exec_lo, s13
	s_delay_alu instid0(SALU_CYCLE_1)
	s_and_b32 s2, s14, exec_lo
.LBB69_28:
	s_or_b32 exec_lo, exec_lo, s9
	s_delay_alu instid0(SALU_CYCLE_1)
	s_or_not1_b32 s2, s2, exec_lo
.LBB69_29:
	s_or_b32 exec_lo, exec_lo, s8
	s_delay_alu instid0(SALU_CYCLE_1)
	s_and_b32 exec_lo, exec_lo, s2
	s_cbranch_execz .LBB69_31
; %bb.30:
	s_load_b64 s[0:1], s[0:1], 0x48
	v_mov_b32_e32 v0, 0
	s_wait_kmcnt 0x0
	global_store_b32 v0, v20, s[0:1]
.LBB69_31:
	s_endpgm
	.section	.rodata,"a",@progbits
	.p2align	6, 0x0
	.amdhsa_kernel _ZN9rocsparseL23check_matrix_csr_deviceILj256ELj4EdllEEvT3_S1_T2_PKT1_PKS2_PKS1_S9_21rocsparse_index_base_22rocsparse_matrix_type_20rocsparse_fill_mode_23rocsparse_storage_mode_P22rocsparse_data_status_
		.amdhsa_group_segment_fixed_size 0
		.amdhsa_private_segment_fixed_size 0
		.amdhsa_kernarg_size 80
		.amdhsa_user_sgpr_count 2
		.amdhsa_user_sgpr_dispatch_ptr 0
		.amdhsa_user_sgpr_queue_ptr 0
		.amdhsa_user_sgpr_kernarg_segment_ptr 1
		.amdhsa_user_sgpr_dispatch_id 0
		.amdhsa_user_sgpr_kernarg_preload_length 0
		.amdhsa_user_sgpr_kernarg_preload_offset 0
		.amdhsa_user_sgpr_private_segment_size 0
		.amdhsa_wavefront_size32 1
		.amdhsa_uses_dynamic_stack 0
		.amdhsa_enable_private_segment 0
		.amdhsa_system_sgpr_workgroup_id_x 1
		.amdhsa_system_sgpr_workgroup_id_y 0
		.amdhsa_system_sgpr_workgroup_id_z 0
		.amdhsa_system_sgpr_workgroup_info 0
		.amdhsa_system_vgpr_workitem_id 0
		.amdhsa_next_free_vgpr 24
		.amdhsa_next_free_sgpr 25
		.amdhsa_named_barrier_count 0
		.amdhsa_reserve_vcc 1
		.amdhsa_float_round_mode_32 0
		.amdhsa_float_round_mode_16_64 0
		.amdhsa_float_denorm_mode_32 3
		.amdhsa_float_denorm_mode_16_64 3
		.amdhsa_fp16_overflow 0
		.amdhsa_memory_ordered 1
		.amdhsa_forward_progress 1
		.amdhsa_inst_pref_size 9
		.amdhsa_round_robin_scheduling 0
		.amdhsa_exception_fp_ieee_invalid_op 0
		.amdhsa_exception_fp_denorm_src 0
		.amdhsa_exception_fp_ieee_div_zero 0
		.amdhsa_exception_fp_ieee_overflow 0
		.amdhsa_exception_fp_ieee_underflow 0
		.amdhsa_exception_fp_ieee_inexact 0
		.amdhsa_exception_int_div_zero 0
	.end_amdhsa_kernel
	.section	.text._ZN9rocsparseL23check_matrix_csr_deviceILj256ELj4EdllEEvT3_S1_T2_PKT1_PKS2_PKS1_S9_21rocsparse_index_base_22rocsparse_matrix_type_20rocsparse_fill_mode_23rocsparse_storage_mode_P22rocsparse_data_status_,"axG",@progbits,_ZN9rocsparseL23check_matrix_csr_deviceILj256ELj4EdllEEvT3_S1_T2_PKT1_PKS2_PKS1_S9_21rocsparse_index_base_22rocsparse_matrix_type_20rocsparse_fill_mode_23rocsparse_storage_mode_P22rocsparse_data_status_,comdat
.Lfunc_end69:
	.size	_ZN9rocsparseL23check_matrix_csr_deviceILj256ELj4EdllEEvT3_S1_T2_PKT1_PKS2_PKS1_S9_21rocsparse_index_base_22rocsparse_matrix_type_20rocsparse_fill_mode_23rocsparse_storage_mode_P22rocsparse_data_status_, .Lfunc_end69-_ZN9rocsparseL23check_matrix_csr_deviceILj256ELj4EdllEEvT3_S1_T2_PKT1_PKS2_PKS1_S9_21rocsparse_index_base_22rocsparse_matrix_type_20rocsparse_fill_mode_23rocsparse_storage_mode_P22rocsparse_data_status_
                                        ; -- End function
	.set _ZN9rocsparseL23check_matrix_csr_deviceILj256ELj4EdllEEvT3_S1_T2_PKT1_PKS2_PKS1_S9_21rocsparse_index_base_22rocsparse_matrix_type_20rocsparse_fill_mode_23rocsparse_storage_mode_P22rocsparse_data_status_.num_vgpr, 24
	.set _ZN9rocsparseL23check_matrix_csr_deviceILj256ELj4EdllEEvT3_S1_T2_PKT1_PKS2_PKS1_S9_21rocsparse_index_base_22rocsparse_matrix_type_20rocsparse_fill_mode_23rocsparse_storage_mode_P22rocsparse_data_status_.num_agpr, 0
	.set _ZN9rocsparseL23check_matrix_csr_deviceILj256ELj4EdllEEvT3_S1_T2_PKT1_PKS2_PKS1_S9_21rocsparse_index_base_22rocsparse_matrix_type_20rocsparse_fill_mode_23rocsparse_storage_mode_P22rocsparse_data_status_.numbered_sgpr, 25
	.set _ZN9rocsparseL23check_matrix_csr_deviceILj256ELj4EdllEEvT3_S1_T2_PKT1_PKS2_PKS1_S9_21rocsparse_index_base_22rocsparse_matrix_type_20rocsparse_fill_mode_23rocsparse_storage_mode_P22rocsparse_data_status_.num_named_barrier, 0
	.set _ZN9rocsparseL23check_matrix_csr_deviceILj256ELj4EdllEEvT3_S1_T2_PKT1_PKS2_PKS1_S9_21rocsparse_index_base_22rocsparse_matrix_type_20rocsparse_fill_mode_23rocsparse_storage_mode_P22rocsparse_data_status_.private_seg_size, 0
	.set _ZN9rocsparseL23check_matrix_csr_deviceILj256ELj4EdllEEvT3_S1_T2_PKT1_PKS2_PKS1_S9_21rocsparse_index_base_22rocsparse_matrix_type_20rocsparse_fill_mode_23rocsparse_storage_mode_P22rocsparse_data_status_.uses_vcc, 1
	.set _ZN9rocsparseL23check_matrix_csr_deviceILj256ELj4EdllEEvT3_S1_T2_PKT1_PKS2_PKS1_S9_21rocsparse_index_base_22rocsparse_matrix_type_20rocsparse_fill_mode_23rocsparse_storage_mode_P22rocsparse_data_status_.uses_flat_scratch, 0
	.set _ZN9rocsparseL23check_matrix_csr_deviceILj256ELj4EdllEEvT3_S1_T2_PKT1_PKS2_PKS1_S9_21rocsparse_index_base_22rocsparse_matrix_type_20rocsparse_fill_mode_23rocsparse_storage_mode_P22rocsparse_data_status_.has_dyn_sized_stack, 0
	.set _ZN9rocsparseL23check_matrix_csr_deviceILj256ELj4EdllEEvT3_S1_T2_PKT1_PKS2_PKS1_S9_21rocsparse_index_base_22rocsparse_matrix_type_20rocsparse_fill_mode_23rocsparse_storage_mode_P22rocsparse_data_status_.has_recursion, 0
	.set _ZN9rocsparseL23check_matrix_csr_deviceILj256ELj4EdllEEvT3_S1_T2_PKT1_PKS2_PKS1_S9_21rocsparse_index_base_22rocsparse_matrix_type_20rocsparse_fill_mode_23rocsparse_storage_mode_P22rocsparse_data_status_.has_indirect_call, 0
	.section	.AMDGPU.csdata,"",@progbits
; Kernel info:
; codeLenInByte = 1036
; TotalNumSgprs: 27
; NumVgprs: 24
; ScratchSize: 0
; MemoryBound: 0
; FloatMode: 240
; IeeeMode: 1
; LDSByteSize: 0 bytes/workgroup (compile time only)
; SGPRBlocks: 0
; VGPRBlocks: 1
; NumSGPRsForWavesPerEU: 27
; NumVGPRsForWavesPerEU: 24
; NamedBarCnt: 0
; Occupancy: 16
; WaveLimiterHint : 0
; COMPUTE_PGM_RSRC2:SCRATCH_EN: 0
; COMPUTE_PGM_RSRC2:USER_SGPR: 2
; COMPUTE_PGM_RSRC2:TRAP_HANDLER: 0
; COMPUTE_PGM_RSRC2:TGID_X_EN: 1
; COMPUTE_PGM_RSRC2:TGID_Y_EN: 0
; COMPUTE_PGM_RSRC2:TGID_Z_EN: 0
; COMPUTE_PGM_RSRC2:TIDIG_COMP_CNT: 0
	.section	.text._ZN9rocsparseL23check_matrix_csr_deviceILj256ELj8EdllEEvT3_S1_T2_PKT1_PKS2_PKS1_S9_21rocsparse_index_base_22rocsparse_matrix_type_20rocsparse_fill_mode_23rocsparse_storage_mode_P22rocsparse_data_status_,"axG",@progbits,_ZN9rocsparseL23check_matrix_csr_deviceILj256ELj8EdllEEvT3_S1_T2_PKT1_PKS2_PKS1_S9_21rocsparse_index_base_22rocsparse_matrix_type_20rocsparse_fill_mode_23rocsparse_storage_mode_P22rocsparse_data_status_,comdat
	.globl	_ZN9rocsparseL23check_matrix_csr_deviceILj256ELj8EdllEEvT3_S1_T2_PKT1_PKS2_PKS1_S9_21rocsparse_index_base_22rocsparse_matrix_type_20rocsparse_fill_mode_23rocsparse_storage_mode_P22rocsparse_data_status_ ; -- Begin function _ZN9rocsparseL23check_matrix_csr_deviceILj256ELj8EdllEEvT3_S1_T2_PKT1_PKS2_PKS1_S9_21rocsparse_index_base_22rocsparse_matrix_type_20rocsparse_fill_mode_23rocsparse_storage_mode_P22rocsparse_data_status_
	.p2align	8
	.type	_ZN9rocsparseL23check_matrix_csr_deviceILj256ELj8EdllEEvT3_S1_T2_PKT1_PKS2_PKS1_S9_21rocsparse_index_base_22rocsparse_matrix_type_20rocsparse_fill_mode_23rocsparse_storage_mode_P22rocsparse_data_status_,@function
_ZN9rocsparseL23check_matrix_csr_deviceILj256ELj8EdllEEvT3_S1_T2_PKT1_PKS2_PKS1_S9_21rocsparse_index_base_22rocsparse_matrix_type_20rocsparse_fill_mode_23rocsparse_storage_mode_P22rocsparse_data_status_: ; @_ZN9rocsparseL23check_matrix_csr_deviceILj256ELj8EdllEEvT3_S1_T2_PKT1_PKS2_PKS1_S9_21rocsparse_index_base_22rocsparse_matrix_type_20rocsparse_fill_mode_23rocsparse_storage_mode_P22rocsparse_data_status_
; %bb.0:
	s_bfe_u32 s2, ttmp6, 0x4000c
	s_load_b128 s[4:7], s[0:1], 0x0
	s_add_co_i32 s2, s2, 1
	s_and_b32 s3, ttmp6, 15
	s_mul_i32 s2, ttmp9, s2
	s_getreg_b32 s8, hwreg(HW_REG_IB_STS2, 6, 4)
	s_add_co_i32 s3, s3, s2
	s_cmp_eq_u32 s8, 0
	v_mov_b32_e32 v3, 0
	s_cselect_b32 s2, ttmp9, s3
	s_delay_alu instid0(SALU_CYCLE_1) | instskip(SKIP_1) | instid1(VALU_DEP_1)
	v_lshl_or_b32 v1, s2, 8, v0
	s_mov_b32 s2, exec_lo
	v_lshrrev_b32_e32 v2, 3, v1
	s_wait_kmcnt 0x0
	s_delay_alu instid0(VALU_DEP_1)
	v_cmpx_gt_i64_e64 s[4:5], v[2:3]
	s_cbranch_execz .LBB70_31
; %bb.1:
	s_load_b64 s[2:3], s[0:1], 0x20
	v_dual_mov_b32 v20, 3 :: v_dual_lshlrev_b32 v1, 3, v2
	s_wait_kmcnt 0x0
	global_load_b128 v[8:11], v1, s[2:3]
	s_wait_xcnt 0x0
	s_load_b64 s[2:3], s[2:3], 0x0
	s_wait_loadcnt 0x0
	s_wait_kmcnt 0x0
	v_sub_nc_u64_e64 v[4:5], v[10:11], s[2:3]
	v_sub_nc_u64_e64 v[6:7], v[8:9], s[2:3]
	v_cmp_lt_i64_e64 s2, v[10:11], v[8:9]
	s_delay_alu instid0(VALU_DEP_3) | instskip(NEXT) | instid1(VALU_DEP_3)
	v_cmp_gt_i64_e32 vcc_lo, 0, v[4:5]
	v_cmp_lt_i64_e64 s3, -1, v[6:7]
	s_or_b32 s2, vcc_lo, s2
	s_delay_alu instid0(SALU_CYCLE_1) | instskip(SKIP_2) | instid1(SALU_CYCLE_1)
	s_xor_b32 s4, s2, -1
	s_mov_b32 s2, -1
	s_and_b32 s3, s3, s4
	s_and_saveexec_b32 s8, s3
	s_cbranch_execz .LBB70_29
; %bb.2:
	v_dual_mov_b32 v1, 0 :: v_dual_bitop2_b32 v0, 7, v0 bitop3:0x40
	v_mov_b32_e32 v20, 3
	s_mov_b32 s2, 0
	s_mov_b32 s9, exec_lo
	s_delay_alu instid0(VALU_DEP_2) | instskip(NEXT) | instid1(VALU_DEP_1)
	v_add_nc_u64_e32 v[0:1], v[6:7], v[0:1]
	v_cmpx_lt_u64_e64 v[0:1], v[4:5]
	s_cbranch_execz .LBB70_28
; %bb.3:
	s_clause 0x1
	s_load_b256 s[12:19], s[0:1], 0x28
	s_load_b64 s[2:3], s[0:1], 0x18
	v_lshlrev_b64_e32 v[12:13], 3, v[0:1]
	s_mov_b32 s5, 0
	s_wait_kmcnt 0x0
	s_delay_alu instid0(VALU_DEP_1)
	v_add_nc_u64_e32 v[10:11], s[14:15], v[12:13]
	s_cmp_lg_u32 s17, 0
	v_add_nc_u64_e32 v[8:9], s[2:3], v[12:13]
	v_add_nc_u64_e32 v[12:13], s[12:13], v[12:13]
	s_cselect_b32 s10, -1, 0
	s_cmp_lg_u32 s18, 0
	s_mov_b32 s4, s16
	v_add_nc_u64_e32 v[10:11], -8, v[10:11]
	s_cselect_b32 s11, -1, 0
	s_cmp_lg_u32 s19, 0
	s_mov_b32 s13, s5
	s_cselect_b32 s12, -1, 0
                                        ; implicit-def: $sgpr14
                                        ; implicit-def: $sgpr15
                                        ; implicit-def: $sgpr16
	s_branch .LBB70_10
.LBB70_4:                               ;   in Loop: Header=BB70_10 Depth=1
	s_or_b32 exec_lo, exec_lo, s3
	s_delay_alu instid0(SALU_CYCLE_1)
	s_or_not1_b32 s24, s2, exec_lo
	s_or_not1_b32 s2, s21, exec_lo
.LBB70_5:                               ;   in Loop: Header=BB70_10 Depth=1
	s_or_b32 exec_lo, exec_lo, s22
	s_delay_alu instid0(SALU_CYCLE_1)
	s_or_not1_b32 s3, s24, exec_lo
	s_or_not1_b32 s2, s2, exec_lo
.LBB70_6:                               ;   in Loop: Header=BB70_10 Depth=1
	s_or_b32 exec_lo, exec_lo, s20
	s_delay_alu instid0(SALU_CYCLE_1)
	s_or_not1_b32 s3, s3, exec_lo
	s_or_not1_b32 s2, s2, exec_lo
.LBB70_7:                               ;   in Loop: Header=BB70_10 Depth=1
	s_or_b32 exec_lo, exec_lo, s19
	s_delay_alu instid0(SALU_CYCLE_1)
	s_or_not1_b32 s3, s3, exec_lo
	s_or_not1_b32 s2, s2, exec_lo
.LBB70_8:                               ;   in Loop: Header=BB70_10 Depth=1
	s_or_b32 exec_lo, exec_lo, s18
	s_delay_alu instid0(SALU_CYCLE_1)
	s_and_not1_b32 s16, s16, exec_lo
	s_and_b32 s3, s3, exec_lo
	s_and_not1_b32 s15, s15, exec_lo
	s_and_b32 s2, s2, exec_lo
	s_or_b32 s16, s16, s3
	s_or_b32 s15, s15, s2
.LBB70_9:                               ;   in Loop: Header=BB70_10 Depth=1
	s_or_b32 exec_lo, exec_lo, s17
	s_delay_alu instid0(SALU_CYCLE_1) | instskip(NEXT) | instid1(SALU_CYCLE_1)
	s_and_b32 s2, exec_lo, s15
	s_or_b32 s13, s2, s13
	s_and_not1_b32 s2, s14, exec_lo
	s_and_b32 s3, s16, exec_lo
	s_delay_alu instid0(SALU_CYCLE_1)
	s_or_b32 s14, s2, s3
	s_and_not1_b32 exec_lo, exec_lo, s13
	s_cbranch_execz .LBB70_27
.LBB70_10:                              ; =>This Inner Loop Header: Depth=1
	global_load_b64 v[14:15], v[12:13], off
	v_mov_b32_e32 v20, 4
	s_or_b32 s16, s16, exec_lo
	s_or_b32 s15, s15, exec_lo
	s_wait_loadcnt 0x0
	v_sub_nc_u64_e64 v[16:17], v[14:15], s[4:5]
	s_delay_alu instid0(VALU_DEP_1) | instskip(SKIP_2) | instid1(SALU_CYCLE_1)
	v_cmp_lt_i64_e32 vcc_lo, -1, v[16:17]
	v_cmp_gt_i64_e64 s2, s[6:7], v[16:17]
	s_and_b32 s2, vcc_lo, s2
	s_and_saveexec_b32 s17, s2
	s_cbranch_execz .LBB70_9
; %bb.11:                               ;   in Loop: Header=BB70_10 Depth=1
	v_cmp_le_i64_e64 s21, v[0:1], v[6:7]
	v_mov_b32_e32 v20, 4
	s_mov_b32 s18, exec_lo
	s_mov_b32 s19, s21
	v_cmpx_gt_i64_e64 v[0:1], v[6:7]
	s_cbranch_execz .LBB70_13
; %bb.12:                               ;   in Loop: Header=BB70_10 Depth=1
	global_load_b128 v[18:21], v[10:11], off
	s_wait_loadcnt 0x0
	v_sub_nc_u64_e64 v[22:23], v[18:19], s[4:5]
	v_cmp_ne_u64_e64 s3, v[20:21], v[18:19]
	v_mov_b32_e32 v20, 5
	s_delay_alu instid0(VALU_DEP_3) | instskip(SKIP_2) | instid1(SALU_CYCLE_1)
	v_cmp_lt_i64_e32 vcc_lo, -1, v[22:23]
	v_cmp_gt_i64_e64 s2, s[6:7], v[22:23]
	s_and_b32 s2, vcc_lo, s2
	s_xor_b32 s2, s2, -1
	s_delay_alu instid0(SALU_CYCLE_1) | instskip(SKIP_2) | instid1(SALU_CYCLE_1)
	s_or_b32 s2, s3, s2
	s_and_not1_b32 s3, s21, exec_lo
	s_and_b32 s2, s2, exec_lo
	s_or_b32 s19, s3, s2
.LBB70_13:                              ;   in Loop: Header=BB70_10 Depth=1
	s_or_b32 exec_lo, exec_lo, s18
	s_mov_b32 s2, -1
	s_mov_b32 s3, -1
	s_and_saveexec_b32 s18, s19
	s_cbranch_execz .LBB70_8
; %bb.14:                               ;   in Loop: Header=BB70_10 Depth=1
	global_load_b64 v[18:19], v[8:9], off
	v_mov_b32_e32 v20, 1
	s_mov_b32 s19, exec_lo
	s_wait_loadcnt 0x0
	v_cmpx_neq_f64_e32 0x7ff00000, v[18:19]
	s_cbranch_execz .LBB70_7
; %bb.15:                               ;   in Loop: Header=BB70_10 Depth=1
	v_mov_b32_e32 v20, 2
	s_mov_b32 s20, exec_lo
	v_cmpx_o_f64_e32 v[18:19], v[18:19]
	s_cbranch_execz .LBB70_6
; %bb.16:                               ;   in Loop: Header=BB70_10 Depth=1
	s_and_b32 vcc_lo, exec_lo, s10
	s_cbranch_vccz .LBB70_19
; %bb.17:                               ;   in Loop: Header=BB70_10 Depth=1
	s_and_b32 vcc_lo, exec_lo, s11
	s_cbranch_vccz .LBB70_20
; %bb.18:                               ;   in Loop: Header=BB70_10 Depth=1
	v_cmp_ge_i64_e32 vcc_lo, v[16:17], v[2:3]
	s_mov_b32 s3, 7
	s_and_b32 s23, vcc_lo, exec_lo
	s_cbranch_execz .LBB70_21
	s_branch .LBB70_22
.LBB70_19:                              ;   in Loop: Header=BB70_10 Depth=1
	s_mov_b32 s3, 2
	s_mov_b32 s23, -1
	s_branch .LBB70_22
.LBB70_20:                              ;   in Loop: Header=BB70_10 Depth=1
	s_mov_b32 s23, 0
	s_mov_b32 s3, 2
.LBB70_21:                              ;   in Loop: Header=BB70_10 Depth=1
	v_cmp_le_i64_e32 vcc_lo, v[16:17], v[2:3]
	s_and_not1_b32 s22, s23, exec_lo
	s_mov_b32 s3, 7
	s_and_b32 s23, vcc_lo, exec_lo
	s_delay_alu instid0(SALU_CYCLE_1)
	s_or_b32 s23, s22, s23
.LBB70_22:                              ;   in Loop: Header=BB70_10 Depth=1
	v_mov_b32_e32 v20, s3
	s_mov_b32 s24, -1
	s_and_saveexec_b32 s22, s23
	s_cbranch_execz .LBB70_5
; %bb.23:                               ;   in Loop: Header=BB70_10 Depth=1
	v_mov_b32_e32 v20, s3
	s_nor_b32 s2, s12, s21
	s_mov_b32 s21, -1
	s_and_saveexec_b32 s23, s2
	s_cbranch_execz .LBB70_25
; %bb.24:                               ;   in Loop: Header=BB70_10 Depth=1
	global_load_b64 v[16:17], v[12:13], off offset:-8
	v_mov_b32_e32 v20, 6
	s_wait_loadcnt 0x0
	v_sub_nc_u64_e64 v[18:19], v[16:17], s[4:5]
	v_cmp_gt_i64_e64 s3, v[14:15], v[16:17]
	s_delay_alu instid0(VALU_DEP_2) | instskip(SKIP_2) | instid1(SALU_CYCLE_1)
	v_cmp_lt_i64_e32 vcc_lo, -1, v[18:19]
	v_cmp_gt_i64_e64 s2, s[6:7], v[18:19]
	s_and_b32 s2, vcc_lo, s2
	s_xor_b32 s2, s2, -1
	s_delay_alu instid0(SALU_CYCLE_1) | instskip(NEXT) | instid1(SALU_CYCLE_1)
	s_or_b32 s2, s3, s2
	s_or_not1_b32 s24, s2, exec_lo
.LBB70_25:                              ;   in Loop: Header=BB70_10 Depth=1
	s_or_b32 exec_lo, exec_lo, s23
	s_mov_b32 s2, -1
	s_and_saveexec_b32 s3, s24
	s_cbranch_execz .LBB70_4
; %bb.26:                               ;   in Loop: Header=BB70_10 Depth=1
	v_add_nc_u64_e32 v[0:1], 8, v[0:1]
	v_add_nc_u64_e32 v[10:11], 64, v[10:11]
	;; [unrolled: 1-line block ×4, first 2 shown]
	s_xor_b32 s2, exec_lo, -1
	s_delay_alu instid0(VALU_DEP_4)
	v_cmp_ge_i64_e32 vcc_lo, v[0:1], v[4:5]
	s_or_not1_b32 s21, vcc_lo, exec_lo
	s_branch .LBB70_4
.LBB70_27:
	s_or_b32 exec_lo, exec_lo, s13
	s_delay_alu instid0(SALU_CYCLE_1)
	s_and_b32 s2, s14, exec_lo
.LBB70_28:
	s_or_b32 exec_lo, exec_lo, s9
	s_delay_alu instid0(SALU_CYCLE_1)
	s_or_not1_b32 s2, s2, exec_lo
.LBB70_29:
	s_or_b32 exec_lo, exec_lo, s8
	s_delay_alu instid0(SALU_CYCLE_1)
	s_and_b32 exec_lo, exec_lo, s2
	s_cbranch_execz .LBB70_31
; %bb.30:
	s_load_b64 s[0:1], s[0:1], 0x48
	v_mov_b32_e32 v0, 0
	s_wait_kmcnt 0x0
	global_store_b32 v0, v20, s[0:1]
.LBB70_31:
	s_endpgm
	.section	.rodata,"a",@progbits
	.p2align	6, 0x0
	.amdhsa_kernel _ZN9rocsparseL23check_matrix_csr_deviceILj256ELj8EdllEEvT3_S1_T2_PKT1_PKS2_PKS1_S9_21rocsparse_index_base_22rocsparse_matrix_type_20rocsparse_fill_mode_23rocsparse_storage_mode_P22rocsparse_data_status_
		.amdhsa_group_segment_fixed_size 0
		.amdhsa_private_segment_fixed_size 0
		.amdhsa_kernarg_size 80
		.amdhsa_user_sgpr_count 2
		.amdhsa_user_sgpr_dispatch_ptr 0
		.amdhsa_user_sgpr_queue_ptr 0
		.amdhsa_user_sgpr_kernarg_segment_ptr 1
		.amdhsa_user_sgpr_dispatch_id 0
		.amdhsa_user_sgpr_kernarg_preload_length 0
		.amdhsa_user_sgpr_kernarg_preload_offset 0
		.amdhsa_user_sgpr_private_segment_size 0
		.amdhsa_wavefront_size32 1
		.amdhsa_uses_dynamic_stack 0
		.amdhsa_enable_private_segment 0
		.amdhsa_system_sgpr_workgroup_id_x 1
		.amdhsa_system_sgpr_workgroup_id_y 0
		.amdhsa_system_sgpr_workgroup_id_z 0
		.amdhsa_system_sgpr_workgroup_info 0
		.amdhsa_system_vgpr_workitem_id 0
		.amdhsa_next_free_vgpr 24
		.amdhsa_next_free_sgpr 25
		.amdhsa_named_barrier_count 0
		.amdhsa_reserve_vcc 1
		.amdhsa_float_round_mode_32 0
		.amdhsa_float_round_mode_16_64 0
		.amdhsa_float_denorm_mode_32 3
		.amdhsa_float_denorm_mode_16_64 3
		.amdhsa_fp16_overflow 0
		.amdhsa_memory_ordered 1
		.amdhsa_forward_progress 1
		.amdhsa_inst_pref_size 9
		.amdhsa_round_robin_scheduling 0
		.amdhsa_exception_fp_ieee_invalid_op 0
		.amdhsa_exception_fp_denorm_src 0
		.amdhsa_exception_fp_ieee_div_zero 0
		.amdhsa_exception_fp_ieee_overflow 0
		.amdhsa_exception_fp_ieee_underflow 0
		.amdhsa_exception_fp_ieee_inexact 0
		.amdhsa_exception_int_div_zero 0
	.end_amdhsa_kernel
	.section	.text._ZN9rocsparseL23check_matrix_csr_deviceILj256ELj8EdllEEvT3_S1_T2_PKT1_PKS2_PKS1_S9_21rocsparse_index_base_22rocsparse_matrix_type_20rocsparse_fill_mode_23rocsparse_storage_mode_P22rocsparse_data_status_,"axG",@progbits,_ZN9rocsparseL23check_matrix_csr_deviceILj256ELj8EdllEEvT3_S1_T2_PKT1_PKS2_PKS1_S9_21rocsparse_index_base_22rocsparse_matrix_type_20rocsparse_fill_mode_23rocsparse_storage_mode_P22rocsparse_data_status_,comdat
.Lfunc_end70:
	.size	_ZN9rocsparseL23check_matrix_csr_deviceILj256ELj8EdllEEvT3_S1_T2_PKT1_PKS2_PKS1_S9_21rocsparse_index_base_22rocsparse_matrix_type_20rocsparse_fill_mode_23rocsparse_storage_mode_P22rocsparse_data_status_, .Lfunc_end70-_ZN9rocsparseL23check_matrix_csr_deviceILj256ELj8EdllEEvT3_S1_T2_PKT1_PKS2_PKS1_S9_21rocsparse_index_base_22rocsparse_matrix_type_20rocsparse_fill_mode_23rocsparse_storage_mode_P22rocsparse_data_status_
                                        ; -- End function
	.set _ZN9rocsparseL23check_matrix_csr_deviceILj256ELj8EdllEEvT3_S1_T2_PKT1_PKS2_PKS1_S9_21rocsparse_index_base_22rocsparse_matrix_type_20rocsparse_fill_mode_23rocsparse_storage_mode_P22rocsparse_data_status_.num_vgpr, 24
	.set _ZN9rocsparseL23check_matrix_csr_deviceILj256ELj8EdllEEvT3_S1_T2_PKT1_PKS2_PKS1_S9_21rocsparse_index_base_22rocsparse_matrix_type_20rocsparse_fill_mode_23rocsparse_storage_mode_P22rocsparse_data_status_.num_agpr, 0
	.set _ZN9rocsparseL23check_matrix_csr_deviceILj256ELj8EdllEEvT3_S1_T2_PKT1_PKS2_PKS1_S9_21rocsparse_index_base_22rocsparse_matrix_type_20rocsparse_fill_mode_23rocsparse_storage_mode_P22rocsparse_data_status_.numbered_sgpr, 25
	.set _ZN9rocsparseL23check_matrix_csr_deviceILj256ELj8EdllEEvT3_S1_T2_PKT1_PKS2_PKS1_S9_21rocsparse_index_base_22rocsparse_matrix_type_20rocsparse_fill_mode_23rocsparse_storage_mode_P22rocsparse_data_status_.num_named_barrier, 0
	.set _ZN9rocsparseL23check_matrix_csr_deviceILj256ELj8EdllEEvT3_S1_T2_PKT1_PKS2_PKS1_S9_21rocsparse_index_base_22rocsparse_matrix_type_20rocsparse_fill_mode_23rocsparse_storage_mode_P22rocsparse_data_status_.private_seg_size, 0
	.set _ZN9rocsparseL23check_matrix_csr_deviceILj256ELj8EdllEEvT3_S1_T2_PKT1_PKS2_PKS1_S9_21rocsparse_index_base_22rocsparse_matrix_type_20rocsparse_fill_mode_23rocsparse_storage_mode_P22rocsparse_data_status_.uses_vcc, 1
	.set _ZN9rocsparseL23check_matrix_csr_deviceILj256ELj8EdllEEvT3_S1_T2_PKT1_PKS2_PKS1_S9_21rocsparse_index_base_22rocsparse_matrix_type_20rocsparse_fill_mode_23rocsparse_storage_mode_P22rocsparse_data_status_.uses_flat_scratch, 0
	.set _ZN9rocsparseL23check_matrix_csr_deviceILj256ELj8EdllEEvT3_S1_T2_PKT1_PKS2_PKS1_S9_21rocsparse_index_base_22rocsparse_matrix_type_20rocsparse_fill_mode_23rocsparse_storage_mode_P22rocsparse_data_status_.has_dyn_sized_stack, 0
	.set _ZN9rocsparseL23check_matrix_csr_deviceILj256ELj8EdllEEvT3_S1_T2_PKT1_PKS2_PKS1_S9_21rocsparse_index_base_22rocsparse_matrix_type_20rocsparse_fill_mode_23rocsparse_storage_mode_P22rocsparse_data_status_.has_recursion, 0
	.set _ZN9rocsparseL23check_matrix_csr_deviceILj256ELj8EdllEEvT3_S1_T2_PKT1_PKS2_PKS1_S9_21rocsparse_index_base_22rocsparse_matrix_type_20rocsparse_fill_mode_23rocsparse_storage_mode_P22rocsparse_data_status_.has_indirect_call, 0
	.section	.AMDGPU.csdata,"",@progbits
; Kernel info:
; codeLenInByte = 1036
; TotalNumSgprs: 27
; NumVgprs: 24
; ScratchSize: 0
; MemoryBound: 0
; FloatMode: 240
; IeeeMode: 1
; LDSByteSize: 0 bytes/workgroup (compile time only)
; SGPRBlocks: 0
; VGPRBlocks: 1
; NumSGPRsForWavesPerEU: 27
; NumVGPRsForWavesPerEU: 24
; NamedBarCnt: 0
; Occupancy: 16
; WaveLimiterHint : 0
; COMPUTE_PGM_RSRC2:SCRATCH_EN: 0
; COMPUTE_PGM_RSRC2:USER_SGPR: 2
; COMPUTE_PGM_RSRC2:TRAP_HANDLER: 0
; COMPUTE_PGM_RSRC2:TGID_X_EN: 1
; COMPUTE_PGM_RSRC2:TGID_Y_EN: 0
; COMPUTE_PGM_RSRC2:TGID_Z_EN: 0
; COMPUTE_PGM_RSRC2:TIDIG_COMP_CNT: 0
	.section	.text._ZN9rocsparseL23check_matrix_csr_deviceILj256ELj16EdllEEvT3_S1_T2_PKT1_PKS2_PKS1_S9_21rocsparse_index_base_22rocsparse_matrix_type_20rocsparse_fill_mode_23rocsparse_storage_mode_P22rocsparse_data_status_,"axG",@progbits,_ZN9rocsparseL23check_matrix_csr_deviceILj256ELj16EdllEEvT3_S1_T2_PKT1_PKS2_PKS1_S9_21rocsparse_index_base_22rocsparse_matrix_type_20rocsparse_fill_mode_23rocsparse_storage_mode_P22rocsparse_data_status_,comdat
	.globl	_ZN9rocsparseL23check_matrix_csr_deviceILj256ELj16EdllEEvT3_S1_T2_PKT1_PKS2_PKS1_S9_21rocsparse_index_base_22rocsparse_matrix_type_20rocsparse_fill_mode_23rocsparse_storage_mode_P22rocsparse_data_status_ ; -- Begin function _ZN9rocsparseL23check_matrix_csr_deviceILj256ELj16EdllEEvT3_S1_T2_PKT1_PKS2_PKS1_S9_21rocsparse_index_base_22rocsparse_matrix_type_20rocsparse_fill_mode_23rocsparse_storage_mode_P22rocsparse_data_status_
	.p2align	8
	.type	_ZN9rocsparseL23check_matrix_csr_deviceILj256ELj16EdllEEvT3_S1_T2_PKT1_PKS2_PKS1_S9_21rocsparse_index_base_22rocsparse_matrix_type_20rocsparse_fill_mode_23rocsparse_storage_mode_P22rocsparse_data_status_,@function
_ZN9rocsparseL23check_matrix_csr_deviceILj256ELj16EdllEEvT3_S1_T2_PKT1_PKS2_PKS1_S9_21rocsparse_index_base_22rocsparse_matrix_type_20rocsparse_fill_mode_23rocsparse_storage_mode_P22rocsparse_data_status_: ; @_ZN9rocsparseL23check_matrix_csr_deviceILj256ELj16EdllEEvT3_S1_T2_PKT1_PKS2_PKS1_S9_21rocsparse_index_base_22rocsparse_matrix_type_20rocsparse_fill_mode_23rocsparse_storage_mode_P22rocsparse_data_status_
; %bb.0:
	s_bfe_u32 s2, ttmp6, 0x4000c
	s_load_b128 s[4:7], s[0:1], 0x0
	s_add_co_i32 s2, s2, 1
	s_and_b32 s3, ttmp6, 15
	s_mul_i32 s2, ttmp9, s2
	s_getreg_b32 s8, hwreg(HW_REG_IB_STS2, 6, 4)
	s_add_co_i32 s3, s3, s2
	s_cmp_eq_u32 s8, 0
	v_mov_b32_e32 v3, 0
	s_cselect_b32 s2, ttmp9, s3
	s_delay_alu instid0(SALU_CYCLE_1) | instskip(SKIP_1) | instid1(VALU_DEP_1)
	v_lshl_or_b32 v1, s2, 8, v0
	s_mov_b32 s2, exec_lo
	v_lshrrev_b32_e32 v2, 4, v1
	s_wait_kmcnt 0x0
	s_delay_alu instid0(VALU_DEP_1)
	v_cmpx_gt_i64_e64 s[4:5], v[2:3]
	s_cbranch_execz .LBB71_31
; %bb.1:
	s_load_b64 s[2:3], s[0:1], 0x20
	v_dual_mov_b32 v20, 3 :: v_dual_lshlrev_b32 v1, 3, v2
	s_wait_kmcnt 0x0
	global_load_b128 v[8:11], v1, s[2:3]
	s_wait_xcnt 0x0
	s_load_b64 s[2:3], s[2:3], 0x0
	s_wait_loadcnt 0x0
	s_wait_kmcnt 0x0
	v_sub_nc_u64_e64 v[4:5], v[10:11], s[2:3]
	v_sub_nc_u64_e64 v[6:7], v[8:9], s[2:3]
	v_cmp_lt_i64_e64 s2, v[10:11], v[8:9]
	s_delay_alu instid0(VALU_DEP_3) | instskip(NEXT) | instid1(VALU_DEP_3)
	v_cmp_gt_i64_e32 vcc_lo, 0, v[4:5]
	v_cmp_lt_i64_e64 s3, -1, v[6:7]
	s_or_b32 s2, vcc_lo, s2
	s_delay_alu instid0(SALU_CYCLE_1) | instskip(SKIP_2) | instid1(SALU_CYCLE_1)
	s_xor_b32 s4, s2, -1
	s_mov_b32 s2, -1
	s_and_b32 s3, s3, s4
	s_and_saveexec_b32 s8, s3
	s_cbranch_execz .LBB71_29
; %bb.2:
	v_dual_mov_b32 v1, 0 :: v_dual_bitop2_b32 v0, 15, v0 bitop3:0x40
	v_mov_b32_e32 v20, 3
	s_mov_b32 s2, 0
	s_mov_b32 s9, exec_lo
	s_delay_alu instid0(VALU_DEP_2) | instskip(NEXT) | instid1(VALU_DEP_1)
	v_add_nc_u64_e32 v[0:1], v[6:7], v[0:1]
	v_cmpx_lt_u64_e64 v[0:1], v[4:5]
	s_cbranch_execz .LBB71_28
; %bb.3:
	s_clause 0x1
	s_load_b256 s[12:19], s[0:1], 0x28
	s_load_b64 s[2:3], s[0:1], 0x18
	v_lshlrev_b64_e32 v[12:13], 3, v[0:1]
	s_mov_b32 s5, 0
	s_wait_kmcnt 0x0
	s_delay_alu instid0(VALU_DEP_1)
	v_add_nc_u64_e32 v[10:11], s[14:15], v[12:13]
	s_cmp_lg_u32 s17, 0
	v_add_nc_u64_e32 v[8:9], s[2:3], v[12:13]
	v_add_nc_u64_e32 v[12:13], s[12:13], v[12:13]
	s_cselect_b32 s10, -1, 0
	s_cmp_lg_u32 s18, 0
	s_mov_b32 s4, s16
	v_add_nc_u64_e32 v[10:11], -8, v[10:11]
	s_cselect_b32 s11, -1, 0
	s_cmp_lg_u32 s19, 0
	s_mov_b32 s13, s5
	s_cselect_b32 s12, -1, 0
                                        ; implicit-def: $sgpr14
                                        ; implicit-def: $sgpr15
                                        ; implicit-def: $sgpr16
	s_branch .LBB71_10
.LBB71_4:                               ;   in Loop: Header=BB71_10 Depth=1
	s_or_b32 exec_lo, exec_lo, s3
	s_delay_alu instid0(SALU_CYCLE_1)
	s_or_not1_b32 s24, s2, exec_lo
	s_or_not1_b32 s2, s21, exec_lo
.LBB71_5:                               ;   in Loop: Header=BB71_10 Depth=1
	s_or_b32 exec_lo, exec_lo, s22
	s_delay_alu instid0(SALU_CYCLE_1)
	s_or_not1_b32 s3, s24, exec_lo
	s_or_not1_b32 s2, s2, exec_lo
.LBB71_6:                               ;   in Loop: Header=BB71_10 Depth=1
	s_or_b32 exec_lo, exec_lo, s20
	s_delay_alu instid0(SALU_CYCLE_1)
	s_or_not1_b32 s3, s3, exec_lo
	s_or_not1_b32 s2, s2, exec_lo
.LBB71_7:                               ;   in Loop: Header=BB71_10 Depth=1
	s_or_b32 exec_lo, exec_lo, s19
	s_delay_alu instid0(SALU_CYCLE_1)
	s_or_not1_b32 s3, s3, exec_lo
	s_or_not1_b32 s2, s2, exec_lo
.LBB71_8:                               ;   in Loop: Header=BB71_10 Depth=1
	s_or_b32 exec_lo, exec_lo, s18
	s_delay_alu instid0(SALU_CYCLE_1)
	s_and_not1_b32 s16, s16, exec_lo
	s_and_b32 s3, s3, exec_lo
	s_and_not1_b32 s15, s15, exec_lo
	s_and_b32 s2, s2, exec_lo
	s_or_b32 s16, s16, s3
	s_or_b32 s15, s15, s2
.LBB71_9:                               ;   in Loop: Header=BB71_10 Depth=1
	s_or_b32 exec_lo, exec_lo, s17
	s_delay_alu instid0(SALU_CYCLE_1) | instskip(NEXT) | instid1(SALU_CYCLE_1)
	s_and_b32 s2, exec_lo, s15
	s_or_b32 s13, s2, s13
	s_and_not1_b32 s2, s14, exec_lo
	s_and_b32 s3, s16, exec_lo
	s_delay_alu instid0(SALU_CYCLE_1)
	s_or_b32 s14, s2, s3
	s_and_not1_b32 exec_lo, exec_lo, s13
	s_cbranch_execz .LBB71_27
.LBB71_10:                              ; =>This Inner Loop Header: Depth=1
	global_load_b64 v[14:15], v[12:13], off
	v_mov_b32_e32 v20, 4
	s_or_b32 s16, s16, exec_lo
	s_or_b32 s15, s15, exec_lo
	s_wait_loadcnt 0x0
	v_sub_nc_u64_e64 v[16:17], v[14:15], s[4:5]
	s_delay_alu instid0(VALU_DEP_1) | instskip(SKIP_2) | instid1(SALU_CYCLE_1)
	v_cmp_lt_i64_e32 vcc_lo, -1, v[16:17]
	v_cmp_gt_i64_e64 s2, s[6:7], v[16:17]
	s_and_b32 s2, vcc_lo, s2
	s_and_saveexec_b32 s17, s2
	s_cbranch_execz .LBB71_9
; %bb.11:                               ;   in Loop: Header=BB71_10 Depth=1
	v_cmp_le_i64_e64 s21, v[0:1], v[6:7]
	v_mov_b32_e32 v20, 4
	s_mov_b32 s18, exec_lo
	s_mov_b32 s19, s21
	v_cmpx_gt_i64_e64 v[0:1], v[6:7]
	s_cbranch_execz .LBB71_13
; %bb.12:                               ;   in Loop: Header=BB71_10 Depth=1
	global_load_b128 v[18:21], v[10:11], off
	s_wait_loadcnt 0x0
	v_sub_nc_u64_e64 v[22:23], v[18:19], s[4:5]
	v_cmp_ne_u64_e64 s3, v[20:21], v[18:19]
	v_mov_b32_e32 v20, 5
	s_delay_alu instid0(VALU_DEP_3) | instskip(SKIP_2) | instid1(SALU_CYCLE_1)
	v_cmp_lt_i64_e32 vcc_lo, -1, v[22:23]
	v_cmp_gt_i64_e64 s2, s[6:7], v[22:23]
	s_and_b32 s2, vcc_lo, s2
	s_xor_b32 s2, s2, -1
	s_delay_alu instid0(SALU_CYCLE_1) | instskip(SKIP_2) | instid1(SALU_CYCLE_1)
	s_or_b32 s2, s3, s2
	s_and_not1_b32 s3, s21, exec_lo
	s_and_b32 s2, s2, exec_lo
	s_or_b32 s19, s3, s2
.LBB71_13:                              ;   in Loop: Header=BB71_10 Depth=1
	s_or_b32 exec_lo, exec_lo, s18
	s_mov_b32 s2, -1
	s_mov_b32 s3, -1
	s_and_saveexec_b32 s18, s19
	s_cbranch_execz .LBB71_8
; %bb.14:                               ;   in Loop: Header=BB71_10 Depth=1
	global_load_b64 v[18:19], v[8:9], off
	v_mov_b32_e32 v20, 1
	s_mov_b32 s19, exec_lo
	s_wait_loadcnt 0x0
	v_cmpx_neq_f64_e32 0x7ff00000, v[18:19]
	s_cbranch_execz .LBB71_7
; %bb.15:                               ;   in Loop: Header=BB71_10 Depth=1
	v_mov_b32_e32 v20, 2
	s_mov_b32 s20, exec_lo
	v_cmpx_o_f64_e32 v[18:19], v[18:19]
	s_cbranch_execz .LBB71_6
; %bb.16:                               ;   in Loop: Header=BB71_10 Depth=1
	s_and_b32 vcc_lo, exec_lo, s10
	s_cbranch_vccz .LBB71_19
; %bb.17:                               ;   in Loop: Header=BB71_10 Depth=1
	s_and_b32 vcc_lo, exec_lo, s11
	s_cbranch_vccz .LBB71_20
; %bb.18:                               ;   in Loop: Header=BB71_10 Depth=1
	v_cmp_ge_i64_e32 vcc_lo, v[16:17], v[2:3]
	s_mov_b32 s3, 7
	s_and_b32 s23, vcc_lo, exec_lo
	s_cbranch_execz .LBB71_21
	s_branch .LBB71_22
.LBB71_19:                              ;   in Loop: Header=BB71_10 Depth=1
	s_mov_b32 s3, 2
	s_mov_b32 s23, -1
	s_branch .LBB71_22
.LBB71_20:                              ;   in Loop: Header=BB71_10 Depth=1
	s_mov_b32 s23, 0
	s_mov_b32 s3, 2
.LBB71_21:                              ;   in Loop: Header=BB71_10 Depth=1
	v_cmp_le_i64_e32 vcc_lo, v[16:17], v[2:3]
	s_and_not1_b32 s22, s23, exec_lo
	s_mov_b32 s3, 7
	s_and_b32 s23, vcc_lo, exec_lo
	s_delay_alu instid0(SALU_CYCLE_1)
	s_or_b32 s23, s22, s23
.LBB71_22:                              ;   in Loop: Header=BB71_10 Depth=1
	v_mov_b32_e32 v20, s3
	s_mov_b32 s24, -1
	s_and_saveexec_b32 s22, s23
	s_cbranch_execz .LBB71_5
; %bb.23:                               ;   in Loop: Header=BB71_10 Depth=1
	v_mov_b32_e32 v20, s3
	s_nor_b32 s2, s12, s21
	s_mov_b32 s21, -1
	s_and_saveexec_b32 s23, s2
	s_cbranch_execz .LBB71_25
; %bb.24:                               ;   in Loop: Header=BB71_10 Depth=1
	global_load_b64 v[16:17], v[12:13], off offset:-8
	v_mov_b32_e32 v20, 6
	s_wait_loadcnt 0x0
	v_sub_nc_u64_e64 v[18:19], v[16:17], s[4:5]
	v_cmp_gt_i64_e64 s3, v[14:15], v[16:17]
	s_delay_alu instid0(VALU_DEP_2) | instskip(SKIP_2) | instid1(SALU_CYCLE_1)
	v_cmp_lt_i64_e32 vcc_lo, -1, v[18:19]
	v_cmp_gt_i64_e64 s2, s[6:7], v[18:19]
	s_and_b32 s2, vcc_lo, s2
	s_xor_b32 s2, s2, -1
	s_delay_alu instid0(SALU_CYCLE_1) | instskip(NEXT) | instid1(SALU_CYCLE_1)
	s_or_b32 s2, s3, s2
	s_or_not1_b32 s24, s2, exec_lo
.LBB71_25:                              ;   in Loop: Header=BB71_10 Depth=1
	s_or_b32 exec_lo, exec_lo, s23
	s_mov_b32 s2, -1
	s_and_saveexec_b32 s3, s24
	s_cbranch_execz .LBB71_4
; %bb.26:                               ;   in Loop: Header=BB71_10 Depth=1
	v_add_nc_u64_e32 v[0:1], 16, v[0:1]
	v_add_nc_u64_e32 v[10:11], 0x80, v[10:11]
	;; [unrolled: 1-line block ×4, first 2 shown]
	s_xor_b32 s2, exec_lo, -1
	s_delay_alu instid0(VALU_DEP_4)
	v_cmp_ge_i64_e32 vcc_lo, v[0:1], v[4:5]
	s_or_not1_b32 s21, vcc_lo, exec_lo
	s_branch .LBB71_4
.LBB71_27:
	s_or_b32 exec_lo, exec_lo, s13
	s_delay_alu instid0(SALU_CYCLE_1)
	s_and_b32 s2, s14, exec_lo
.LBB71_28:
	s_or_b32 exec_lo, exec_lo, s9
	s_delay_alu instid0(SALU_CYCLE_1)
	s_or_not1_b32 s2, s2, exec_lo
.LBB71_29:
	s_or_b32 exec_lo, exec_lo, s8
	s_delay_alu instid0(SALU_CYCLE_1)
	s_and_b32 exec_lo, exec_lo, s2
	s_cbranch_execz .LBB71_31
; %bb.30:
	s_load_b64 s[0:1], s[0:1], 0x48
	v_mov_b32_e32 v0, 0
	s_wait_kmcnt 0x0
	global_store_b32 v0, v20, s[0:1]
.LBB71_31:
	s_endpgm
	.section	.rodata,"a",@progbits
	.p2align	6, 0x0
	.amdhsa_kernel _ZN9rocsparseL23check_matrix_csr_deviceILj256ELj16EdllEEvT3_S1_T2_PKT1_PKS2_PKS1_S9_21rocsparse_index_base_22rocsparse_matrix_type_20rocsparse_fill_mode_23rocsparse_storage_mode_P22rocsparse_data_status_
		.amdhsa_group_segment_fixed_size 0
		.amdhsa_private_segment_fixed_size 0
		.amdhsa_kernarg_size 80
		.amdhsa_user_sgpr_count 2
		.amdhsa_user_sgpr_dispatch_ptr 0
		.amdhsa_user_sgpr_queue_ptr 0
		.amdhsa_user_sgpr_kernarg_segment_ptr 1
		.amdhsa_user_sgpr_dispatch_id 0
		.amdhsa_user_sgpr_kernarg_preload_length 0
		.amdhsa_user_sgpr_kernarg_preload_offset 0
		.amdhsa_user_sgpr_private_segment_size 0
		.amdhsa_wavefront_size32 1
		.amdhsa_uses_dynamic_stack 0
		.amdhsa_enable_private_segment 0
		.amdhsa_system_sgpr_workgroup_id_x 1
		.amdhsa_system_sgpr_workgroup_id_y 0
		.amdhsa_system_sgpr_workgroup_id_z 0
		.amdhsa_system_sgpr_workgroup_info 0
		.amdhsa_system_vgpr_workitem_id 0
		.amdhsa_next_free_vgpr 24
		.amdhsa_next_free_sgpr 25
		.amdhsa_named_barrier_count 0
		.amdhsa_reserve_vcc 1
		.amdhsa_float_round_mode_32 0
		.amdhsa_float_round_mode_16_64 0
		.amdhsa_float_denorm_mode_32 3
		.amdhsa_float_denorm_mode_16_64 3
		.amdhsa_fp16_overflow 0
		.amdhsa_memory_ordered 1
		.amdhsa_forward_progress 1
		.amdhsa_inst_pref_size 9
		.amdhsa_round_robin_scheduling 0
		.amdhsa_exception_fp_ieee_invalid_op 0
		.amdhsa_exception_fp_denorm_src 0
		.amdhsa_exception_fp_ieee_div_zero 0
		.amdhsa_exception_fp_ieee_overflow 0
		.amdhsa_exception_fp_ieee_underflow 0
		.amdhsa_exception_fp_ieee_inexact 0
		.amdhsa_exception_int_div_zero 0
	.end_amdhsa_kernel
	.section	.text._ZN9rocsparseL23check_matrix_csr_deviceILj256ELj16EdllEEvT3_S1_T2_PKT1_PKS2_PKS1_S9_21rocsparse_index_base_22rocsparse_matrix_type_20rocsparse_fill_mode_23rocsparse_storage_mode_P22rocsparse_data_status_,"axG",@progbits,_ZN9rocsparseL23check_matrix_csr_deviceILj256ELj16EdllEEvT3_S1_T2_PKT1_PKS2_PKS1_S9_21rocsparse_index_base_22rocsparse_matrix_type_20rocsparse_fill_mode_23rocsparse_storage_mode_P22rocsparse_data_status_,comdat
.Lfunc_end71:
	.size	_ZN9rocsparseL23check_matrix_csr_deviceILj256ELj16EdllEEvT3_S1_T2_PKT1_PKS2_PKS1_S9_21rocsparse_index_base_22rocsparse_matrix_type_20rocsparse_fill_mode_23rocsparse_storage_mode_P22rocsparse_data_status_, .Lfunc_end71-_ZN9rocsparseL23check_matrix_csr_deviceILj256ELj16EdllEEvT3_S1_T2_PKT1_PKS2_PKS1_S9_21rocsparse_index_base_22rocsparse_matrix_type_20rocsparse_fill_mode_23rocsparse_storage_mode_P22rocsparse_data_status_
                                        ; -- End function
	.set _ZN9rocsparseL23check_matrix_csr_deviceILj256ELj16EdllEEvT3_S1_T2_PKT1_PKS2_PKS1_S9_21rocsparse_index_base_22rocsparse_matrix_type_20rocsparse_fill_mode_23rocsparse_storage_mode_P22rocsparse_data_status_.num_vgpr, 24
	.set _ZN9rocsparseL23check_matrix_csr_deviceILj256ELj16EdllEEvT3_S1_T2_PKT1_PKS2_PKS1_S9_21rocsparse_index_base_22rocsparse_matrix_type_20rocsparse_fill_mode_23rocsparse_storage_mode_P22rocsparse_data_status_.num_agpr, 0
	.set _ZN9rocsparseL23check_matrix_csr_deviceILj256ELj16EdllEEvT3_S1_T2_PKT1_PKS2_PKS1_S9_21rocsparse_index_base_22rocsparse_matrix_type_20rocsparse_fill_mode_23rocsparse_storage_mode_P22rocsparse_data_status_.numbered_sgpr, 25
	.set _ZN9rocsparseL23check_matrix_csr_deviceILj256ELj16EdllEEvT3_S1_T2_PKT1_PKS2_PKS1_S9_21rocsparse_index_base_22rocsparse_matrix_type_20rocsparse_fill_mode_23rocsparse_storage_mode_P22rocsparse_data_status_.num_named_barrier, 0
	.set _ZN9rocsparseL23check_matrix_csr_deviceILj256ELj16EdllEEvT3_S1_T2_PKT1_PKS2_PKS1_S9_21rocsparse_index_base_22rocsparse_matrix_type_20rocsparse_fill_mode_23rocsparse_storage_mode_P22rocsparse_data_status_.private_seg_size, 0
	.set _ZN9rocsparseL23check_matrix_csr_deviceILj256ELj16EdllEEvT3_S1_T2_PKT1_PKS2_PKS1_S9_21rocsparse_index_base_22rocsparse_matrix_type_20rocsparse_fill_mode_23rocsparse_storage_mode_P22rocsparse_data_status_.uses_vcc, 1
	.set _ZN9rocsparseL23check_matrix_csr_deviceILj256ELj16EdllEEvT3_S1_T2_PKT1_PKS2_PKS1_S9_21rocsparse_index_base_22rocsparse_matrix_type_20rocsparse_fill_mode_23rocsparse_storage_mode_P22rocsparse_data_status_.uses_flat_scratch, 0
	.set _ZN9rocsparseL23check_matrix_csr_deviceILj256ELj16EdllEEvT3_S1_T2_PKT1_PKS2_PKS1_S9_21rocsparse_index_base_22rocsparse_matrix_type_20rocsparse_fill_mode_23rocsparse_storage_mode_P22rocsparse_data_status_.has_dyn_sized_stack, 0
	.set _ZN9rocsparseL23check_matrix_csr_deviceILj256ELj16EdllEEvT3_S1_T2_PKT1_PKS2_PKS1_S9_21rocsparse_index_base_22rocsparse_matrix_type_20rocsparse_fill_mode_23rocsparse_storage_mode_P22rocsparse_data_status_.has_recursion, 0
	.set _ZN9rocsparseL23check_matrix_csr_deviceILj256ELj16EdllEEvT3_S1_T2_PKT1_PKS2_PKS1_S9_21rocsparse_index_base_22rocsparse_matrix_type_20rocsparse_fill_mode_23rocsparse_storage_mode_P22rocsparse_data_status_.has_indirect_call, 0
	.section	.AMDGPU.csdata,"",@progbits
; Kernel info:
; codeLenInByte = 1048
; TotalNumSgprs: 27
; NumVgprs: 24
; ScratchSize: 0
; MemoryBound: 0
; FloatMode: 240
; IeeeMode: 1
; LDSByteSize: 0 bytes/workgroup (compile time only)
; SGPRBlocks: 0
; VGPRBlocks: 1
; NumSGPRsForWavesPerEU: 27
; NumVGPRsForWavesPerEU: 24
; NamedBarCnt: 0
; Occupancy: 16
; WaveLimiterHint : 0
; COMPUTE_PGM_RSRC2:SCRATCH_EN: 0
; COMPUTE_PGM_RSRC2:USER_SGPR: 2
; COMPUTE_PGM_RSRC2:TRAP_HANDLER: 0
; COMPUTE_PGM_RSRC2:TGID_X_EN: 1
; COMPUTE_PGM_RSRC2:TGID_Y_EN: 0
; COMPUTE_PGM_RSRC2:TGID_Z_EN: 0
; COMPUTE_PGM_RSRC2:TIDIG_COMP_CNT: 0
	.section	.text._ZN9rocsparseL23check_matrix_csr_deviceILj256ELj32EdllEEvT3_S1_T2_PKT1_PKS2_PKS1_S9_21rocsparse_index_base_22rocsparse_matrix_type_20rocsparse_fill_mode_23rocsparse_storage_mode_P22rocsparse_data_status_,"axG",@progbits,_ZN9rocsparseL23check_matrix_csr_deviceILj256ELj32EdllEEvT3_S1_T2_PKT1_PKS2_PKS1_S9_21rocsparse_index_base_22rocsparse_matrix_type_20rocsparse_fill_mode_23rocsparse_storage_mode_P22rocsparse_data_status_,comdat
	.globl	_ZN9rocsparseL23check_matrix_csr_deviceILj256ELj32EdllEEvT3_S1_T2_PKT1_PKS2_PKS1_S9_21rocsparse_index_base_22rocsparse_matrix_type_20rocsparse_fill_mode_23rocsparse_storage_mode_P22rocsparse_data_status_ ; -- Begin function _ZN9rocsparseL23check_matrix_csr_deviceILj256ELj32EdllEEvT3_S1_T2_PKT1_PKS2_PKS1_S9_21rocsparse_index_base_22rocsparse_matrix_type_20rocsparse_fill_mode_23rocsparse_storage_mode_P22rocsparse_data_status_
	.p2align	8
	.type	_ZN9rocsparseL23check_matrix_csr_deviceILj256ELj32EdllEEvT3_S1_T2_PKT1_PKS2_PKS1_S9_21rocsparse_index_base_22rocsparse_matrix_type_20rocsparse_fill_mode_23rocsparse_storage_mode_P22rocsparse_data_status_,@function
_ZN9rocsparseL23check_matrix_csr_deviceILj256ELj32EdllEEvT3_S1_T2_PKT1_PKS2_PKS1_S9_21rocsparse_index_base_22rocsparse_matrix_type_20rocsparse_fill_mode_23rocsparse_storage_mode_P22rocsparse_data_status_: ; @_ZN9rocsparseL23check_matrix_csr_deviceILj256ELj32EdllEEvT3_S1_T2_PKT1_PKS2_PKS1_S9_21rocsparse_index_base_22rocsparse_matrix_type_20rocsparse_fill_mode_23rocsparse_storage_mode_P22rocsparse_data_status_
; %bb.0:
	s_bfe_u32 s2, ttmp6, 0x4000c
	s_load_b128 s[4:7], s[0:1], 0x0
	s_add_co_i32 s2, s2, 1
	s_and_b32 s3, ttmp6, 15
	s_mul_i32 s2, ttmp9, s2
	s_getreg_b32 s8, hwreg(HW_REG_IB_STS2, 6, 4)
	s_add_co_i32 s3, s3, s2
	s_cmp_eq_u32 s8, 0
	v_mov_b32_e32 v3, 0
	s_cselect_b32 s2, ttmp9, s3
	s_delay_alu instid0(SALU_CYCLE_1) | instskip(SKIP_1) | instid1(VALU_DEP_1)
	v_lshl_or_b32 v1, s2, 8, v0
	s_mov_b32 s2, exec_lo
	v_lshrrev_b32_e32 v2, 5, v1
	s_wait_kmcnt 0x0
	s_delay_alu instid0(VALU_DEP_1)
	v_cmpx_gt_i64_e64 s[4:5], v[2:3]
	s_cbranch_execz .LBB72_31
; %bb.1:
	s_load_b64 s[2:3], s[0:1], 0x20
	v_dual_mov_b32 v20, 3 :: v_dual_lshlrev_b32 v1, 3, v2
	s_wait_kmcnt 0x0
	global_load_b128 v[8:11], v1, s[2:3]
	s_wait_xcnt 0x0
	s_load_b64 s[2:3], s[2:3], 0x0
	s_wait_loadcnt 0x0
	s_wait_kmcnt 0x0
	v_sub_nc_u64_e64 v[4:5], v[10:11], s[2:3]
	v_sub_nc_u64_e64 v[6:7], v[8:9], s[2:3]
	v_cmp_lt_i64_e64 s2, v[10:11], v[8:9]
	s_delay_alu instid0(VALU_DEP_3) | instskip(NEXT) | instid1(VALU_DEP_3)
	v_cmp_gt_i64_e32 vcc_lo, 0, v[4:5]
	v_cmp_lt_i64_e64 s3, -1, v[6:7]
	s_or_b32 s2, vcc_lo, s2
	s_delay_alu instid0(SALU_CYCLE_1) | instskip(SKIP_2) | instid1(SALU_CYCLE_1)
	s_xor_b32 s4, s2, -1
	s_mov_b32 s2, -1
	s_and_b32 s3, s3, s4
	s_and_saveexec_b32 s8, s3
	s_cbranch_execz .LBB72_29
; %bb.2:
	v_dual_mov_b32 v1, 0 :: v_dual_bitop2_b32 v0, 31, v0 bitop3:0x40
	v_mov_b32_e32 v20, 3
	s_mov_b32 s2, 0
	s_mov_b32 s9, exec_lo
	s_delay_alu instid0(VALU_DEP_2) | instskip(NEXT) | instid1(VALU_DEP_1)
	v_add_nc_u64_e32 v[0:1], v[6:7], v[0:1]
	v_cmpx_lt_u64_e64 v[0:1], v[4:5]
	s_cbranch_execz .LBB72_28
; %bb.3:
	s_clause 0x1
	s_load_b256 s[12:19], s[0:1], 0x28
	s_load_b64 s[2:3], s[0:1], 0x18
	v_lshlrev_b64_e32 v[12:13], 3, v[0:1]
	s_mov_b32 s5, 0
	s_wait_kmcnt 0x0
	s_delay_alu instid0(VALU_DEP_1)
	v_add_nc_u64_e32 v[10:11], s[14:15], v[12:13]
	s_cmp_lg_u32 s17, 0
	v_add_nc_u64_e32 v[8:9], s[2:3], v[12:13]
	v_add_nc_u64_e32 v[12:13], s[12:13], v[12:13]
	s_cselect_b32 s10, -1, 0
	s_cmp_lg_u32 s18, 0
	s_mov_b32 s4, s16
	v_add_nc_u64_e32 v[10:11], -8, v[10:11]
	s_cselect_b32 s11, -1, 0
	s_cmp_lg_u32 s19, 0
	s_mov_b32 s13, s5
	s_cselect_b32 s12, -1, 0
                                        ; implicit-def: $sgpr14
                                        ; implicit-def: $sgpr15
                                        ; implicit-def: $sgpr16
	s_branch .LBB72_10
.LBB72_4:                               ;   in Loop: Header=BB72_10 Depth=1
	s_or_b32 exec_lo, exec_lo, s3
	s_delay_alu instid0(SALU_CYCLE_1)
	s_or_not1_b32 s24, s2, exec_lo
	s_or_not1_b32 s2, s21, exec_lo
.LBB72_5:                               ;   in Loop: Header=BB72_10 Depth=1
	s_or_b32 exec_lo, exec_lo, s22
	s_delay_alu instid0(SALU_CYCLE_1)
	s_or_not1_b32 s3, s24, exec_lo
	s_or_not1_b32 s2, s2, exec_lo
.LBB72_6:                               ;   in Loop: Header=BB72_10 Depth=1
	s_or_b32 exec_lo, exec_lo, s20
	s_delay_alu instid0(SALU_CYCLE_1)
	s_or_not1_b32 s3, s3, exec_lo
	s_or_not1_b32 s2, s2, exec_lo
.LBB72_7:                               ;   in Loop: Header=BB72_10 Depth=1
	s_or_b32 exec_lo, exec_lo, s19
	s_delay_alu instid0(SALU_CYCLE_1)
	s_or_not1_b32 s3, s3, exec_lo
	s_or_not1_b32 s2, s2, exec_lo
.LBB72_8:                               ;   in Loop: Header=BB72_10 Depth=1
	s_or_b32 exec_lo, exec_lo, s18
	s_delay_alu instid0(SALU_CYCLE_1)
	s_and_not1_b32 s16, s16, exec_lo
	s_and_b32 s3, s3, exec_lo
	s_and_not1_b32 s15, s15, exec_lo
	s_and_b32 s2, s2, exec_lo
	s_or_b32 s16, s16, s3
	s_or_b32 s15, s15, s2
.LBB72_9:                               ;   in Loop: Header=BB72_10 Depth=1
	s_or_b32 exec_lo, exec_lo, s17
	s_delay_alu instid0(SALU_CYCLE_1) | instskip(NEXT) | instid1(SALU_CYCLE_1)
	s_and_b32 s2, exec_lo, s15
	s_or_b32 s13, s2, s13
	s_and_not1_b32 s2, s14, exec_lo
	s_and_b32 s3, s16, exec_lo
	s_delay_alu instid0(SALU_CYCLE_1)
	s_or_b32 s14, s2, s3
	s_and_not1_b32 exec_lo, exec_lo, s13
	s_cbranch_execz .LBB72_27
.LBB72_10:                              ; =>This Inner Loop Header: Depth=1
	global_load_b64 v[14:15], v[12:13], off
	v_mov_b32_e32 v20, 4
	s_or_b32 s16, s16, exec_lo
	s_or_b32 s15, s15, exec_lo
	s_wait_loadcnt 0x0
	v_sub_nc_u64_e64 v[16:17], v[14:15], s[4:5]
	s_delay_alu instid0(VALU_DEP_1) | instskip(SKIP_2) | instid1(SALU_CYCLE_1)
	v_cmp_lt_i64_e32 vcc_lo, -1, v[16:17]
	v_cmp_gt_i64_e64 s2, s[6:7], v[16:17]
	s_and_b32 s2, vcc_lo, s2
	s_and_saveexec_b32 s17, s2
	s_cbranch_execz .LBB72_9
; %bb.11:                               ;   in Loop: Header=BB72_10 Depth=1
	v_cmp_le_i64_e64 s21, v[0:1], v[6:7]
	v_mov_b32_e32 v20, 4
	s_mov_b32 s18, exec_lo
	s_mov_b32 s19, s21
	v_cmpx_gt_i64_e64 v[0:1], v[6:7]
	s_cbranch_execz .LBB72_13
; %bb.12:                               ;   in Loop: Header=BB72_10 Depth=1
	global_load_b128 v[18:21], v[10:11], off
	s_wait_loadcnt 0x0
	v_sub_nc_u64_e64 v[22:23], v[18:19], s[4:5]
	v_cmp_ne_u64_e64 s3, v[20:21], v[18:19]
	v_mov_b32_e32 v20, 5
	s_delay_alu instid0(VALU_DEP_3) | instskip(SKIP_2) | instid1(SALU_CYCLE_1)
	v_cmp_lt_i64_e32 vcc_lo, -1, v[22:23]
	v_cmp_gt_i64_e64 s2, s[6:7], v[22:23]
	s_and_b32 s2, vcc_lo, s2
	s_xor_b32 s2, s2, -1
	s_delay_alu instid0(SALU_CYCLE_1) | instskip(SKIP_2) | instid1(SALU_CYCLE_1)
	s_or_b32 s2, s3, s2
	s_and_not1_b32 s3, s21, exec_lo
	s_and_b32 s2, s2, exec_lo
	s_or_b32 s19, s3, s2
.LBB72_13:                              ;   in Loop: Header=BB72_10 Depth=1
	s_or_b32 exec_lo, exec_lo, s18
	s_mov_b32 s2, -1
	s_mov_b32 s3, -1
	s_and_saveexec_b32 s18, s19
	s_cbranch_execz .LBB72_8
; %bb.14:                               ;   in Loop: Header=BB72_10 Depth=1
	global_load_b64 v[18:19], v[8:9], off
	v_mov_b32_e32 v20, 1
	s_mov_b32 s19, exec_lo
	s_wait_loadcnt 0x0
	v_cmpx_neq_f64_e32 0x7ff00000, v[18:19]
	s_cbranch_execz .LBB72_7
; %bb.15:                               ;   in Loop: Header=BB72_10 Depth=1
	v_mov_b32_e32 v20, 2
	s_mov_b32 s20, exec_lo
	v_cmpx_o_f64_e32 v[18:19], v[18:19]
	s_cbranch_execz .LBB72_6
; %bb.16:                               ;   in Loop: Header=BB72_10 Depth=1
	s_and_b32 vcc_lo, exec_lo, s10
	s_cbranch_vccz .LBB72_19
; %bb.17:                               ;   in Loop: Header=BB72_10 Depth=1
	s_and_b32 vcc_lo, exec_lo, s11
	s_cbranch_vccz .LBB72_20
; %bb.18:                               ;   in Loop: Header=BB72_10 Depth=1
	v_cmp_ge_i64_e32 vcc_lo, v[16:17], v[2:3]
	s_mov_b32 s3, 7
	s_and_b32 s23, vcc_lo, exec_lo
	s_cbranch_execz .LBB72_21
	s_branch .LBB72_22
.LBB72_19:                              ;   in Loop: Header=BB72_10 Depth=1
	s_mov_b32 s3, 2
	s_mov_b32 s23, -1
	s_branch .LBB72_22
.LBB72_20:                              ;   in Loop: Header=BB72_10 Depth=1
	s_mov_b32 s23, 0
	s_mov_b32 s3, 2
.LBB72_21:                              ;   in Loop: Header=BB72_10 Depth=1
	v_cmp_le_i64_e32 vcc_lo, v[16:17], v[2:3]
	s_and_not1_b32 s22, s23, exec_lo
	s_mov_b32 s3, 7
	s_and_b32 s23, vcc_lo, exec_lo
	s_delay_alu instid0(SALU_CYCLE_1)
	s_or_b32 s23, s22, s23
.LBB72_22:                              ;   in Loop: Header=BB72_10 Depth=1
	v_mov_b32_e32 v20, s3
	s_mov_b32 s24, -1
	s_and_saveexec_b32 s22, s23
	s_cbranch_execz .LBB72_5
; %bb.23:                               ;   in Loop: Header=BB72_10 Depth=1
	v_mov_b32_e32 v20, s3
	s_nor_b32 s2, s12, s21
	s_mov_b32 s21, -1
	s_and_saveexec_b32 s23, s2
	s_cbranch_execz .LBB72_25
; %bb.24:                               ;   in Loop: Header=BB72_10 Depth=1
	global_load_b64 v[16:17], v[12:13], off offset:-8
	v_mov_b32_e32 v20, 6
	s_wait_loadcnt 0x0
	v_sub_nc_u64_e64 v[18:19], v[16:17], s[4:5]
	v_cmp_gt_i64_e64 s3, v[14:15], v[16:17]
	s_delay_alu instid0(VALU_DEP_2) | instskip(SKIP_2) | instid1(SALU_CYCLE_1)
	v_cmp_lt_i64_e32 vcc_lo, -1, v[18:19]
	v_cmp_gt_i64_e64 s2, s[6:7], v[18:19]
	s_and_b32 s2, vcc_lo, s2
	s_xor_b32 s2, s2, -1
	s_delay_alu instid0(SALU_CYCLE_1) | instskip(NEXT) | instid1(SALU_CYCLE_1)
	s_or_b32 s2, s3, s2
	s_or_not1_b32 s24, s2, exec_lo
.LBB72_25:                              ;   in Loop: Header=BB72_10 Depth=1
	s_or_b32 exec_lo, exec_lo, s23
	s_mov_b32 s2, -1
	s_and_saveexec_b32 s3, s24
	s_cbranch_execz .LBB72_4
; %bb.26:                               ;   in Loop: Header=BB72_10 Depth=1
	v_add_nc_u64_e32 v[0:1], 32, v[0:1]
	v_add_nc_u64_e32 v[10:11], 0x100, v[10:11]
	;; [unrolled: 1-line block ×4, first 2 shown]
	s_xor_b32 s2, exec_lo, -1
	s_delay_alu instid0(VALU_DEP_4)
	v_cmp_ge_i64_e32 vcc_lo, v[0:1], v[4:5]
	s_or_not1_b32 s21, vcc_lo, exec_lo
	s_branch .LBB72_4
.LBB72_27:
	s_or_b32 exec_lo, exec_lo, s13
	s_delay_alu instid0(SALU_CYCLE_1)
	s_and_b32 s2, s14, exec_lo
.LBB72_28:
	s_or_b32 exec_lo, exec_lo, s9
	s_delay_alu instid0(SALU_CYCLE_1)
	s_or_not1_b32 s2, s2, exec_lo
.LBB72_29:
	s_or_b32 exec_lo, exec_lo, s8
	s_delay_alu instid0(SALU_CYCLE_1)
	s_and_b32 exec_lo, exec_lo, s2
	s_cbranch_execz .LBB72_31
; %bb.30:
	s_load_b64 s[0:1], s[0:1], 0x48
	v_mov_b32_e32 v0, 0
	s_wait_kmcnt 0x0
	global_store_b32 v0, v20, s[0:1]
.LBB72_31:
	s_endpgm
	.section	.rodata,"a",@progbits
	.p2align	6, 0x0
	.amdhsa_kernel _ZN9rocsparseL23check_matrix_csr_deviceILj256ELj32EdllEEvT3_S1_T2_PKT1_PKS2_PKS1_S9_21rocsparse_index_base_22rocsparse_matrix_type_20rocsparse_fill_mode_23rocsparse_storage_mode_P22rocsparse_data_status_
		.amdhsa_group_segment_fixed_size 0
		.amdhsa_private_segment_fixed_size 0
		.amdhsa_kernarg_size 80
		.amdhsa_user_sgpr_count 2
		.amdhsa_user_sgpr_dispatch_ptr 0
		.amdhsa_user_sgpr_queue_ptr 0
		.amdhsa_user_sgpr_kernarg_segment_ptr 1
		.amdhsa_user_sgpr_dispatch_id 0
		.amdhsa_user_sgpr_kernarg_preload_length 0
		.amdhsa_user_sgpr_kernarg_preload_offset 0
		.amdhsa_user_sgpr_private_segment_size 0
		.amdhsa_wavefront_size32 1
		.amdhsa_uses_dynamic_stack 0
		.amdhsa_enable_private_segment 0
		.amdhsa_system_sgpr_workgroup_id_x 1
		.amdhsa_system_sgpr_workgroup_id_y 0
		.amdhsa_system_sgpr_workgroup_id_z 0
		.amdhsa_system_sgpr_workgroup_info 0
		.amdhsa_system_vgpr_workitem_id 0
		.amdhsa_next_free_vgpr 24
		.amdhsa_next_free_sgpr 25
		.amdhsa_named_barrier_count 0
		.amdhsa_reserve_vcc 1
		.amdhsa_float_round_mode_32 0
		.amdhsa_float_round_mode_16_64 0
		.amdhsa_float_denorm_mode_32 3
		.amdhsa_float_denorm_mode_16_64 3
		.amdhsa_fp16_overflow 0
		.amdhsa_memory_ordered 1
		.amdhsa_forward_progress 1
		.amdhsa_inst_pref_size 9
		.amdhsa_round_robin_scheduling 0
		.amdhsa_exception_fp_ieee_invalid_op 0
		.amdhsa_exception_fp_denorm_src 0
		.amdhsa_exception_fp_ieee_div_zero 0
		.amdhsa_exception_fp_ieee_overflow 0
		.amdhsa_exception_fp_ieee_underflow 0
		.amdhsa_exception_fp_ieee_inexact 0
		.amdhsa_exception_int_div_zero 0
	.end_amdhsa_kernel
	.section	.text._ZN9rocsparseL23check_matrix_csr_deviceILj256ELj32EdllEEvT3_S1_T2_PKT1_PKS2_PKS1_S9_21rocsparse_index_base_22rocsparse_matrix_type_20rocsparse_fill_mode_23rocsparse_storage_mode_P22rocsparse_data_status_,"axG",@progbits,_ZN9rocsparseL23check_matrix_csr_deviceILj256ELj32EdllEEvT3_S1_T2_PKT1_PKS2_PKS1_S9_21rocsparse_index_base_22rocsparse_matrix_type_20rocsparse_fill_mode_23rocsparse_storage_mode_P22rocsparse_data_status_,comdat
.Lfunc_end72:
	.size	_ZN9rocsparseL23check_matrix_csr_deviceILj256ELj32EdllEEvT3_S1_T2_PKT1_PKS2_PKS1_S9_21rocsparse_index_base_22rocsparse_matrix_type_20rocsparse_fill_mode_23rocsparse_storage_mode_P22rocsparse_data_status_, .Lfunc_end72-_ZN9rocsparseL23check_matrix_csr_deviceILj256ELj32EdllEEvT3_S1_T2_PKT1_PKS2_PKS1_S9_21rocsparse_index_base_22rocsparse_matrix_type_20rocsparse_fill_mode_23rocsparse_storage_mode_P22rocsparse_data_status_
                                        ; -- End function
	.set _ZN9rocsparseL23check_matrix_csr_deviceILj256ELj32EdllEEvT3_S1_T2_PKT1_PKS2_PKS1_S9_21rocsparse_index_base_22rocsparse_matrix_type_20rocsparse_fill_mode_23rocsparse_storage_mode_P22rocsparse_data_status_.num_vgpr, 24
	.set _ZN9rocsparseL23check_matrix_csr_deviceILj256ELj32EdllEEvT3_S1_T2_PKT1_PKS2_PKS1_S9_21rocsparse_index_base_22rocsparse_matrix_type_20rocsparse_fill_mode_23rocsparse_storage_mode_P22rocsparse_data_status_.num_agpr, 0
	.set _ZN9rocsparseL23check_matrix_csr_deviceILj256ELj32EdllEEvT3_S1_T2_PKT1_PKS2_PKS1_S9_21rocsparse_index_base_22rocsparse_matrix_type_20rocsparse_fill_mode_23rocsparse_storage_mode_P22rocsparse_data_status_.numbered_sgpr, 25
	.set _ZN9rocsparseL23check_matrix_csr_deviceILj256ELj32EdllEEvT3_S1_T2_PKT1_PKS2_PKS1_S9_21rocsparse_index_base_22rocsparse_matrix_type_20rocsparse_fill_mode_23rocsparse_storage_mode_P22rocsparse_data_status_.num_named_barrier, 0
	.set _ZN9rocsparseL23check_matrix_csr_deviceILj256ELj32EdllEEvT3_S1_T2_PKT1_PKS2_PKS1_S9_21rocsparse_index_base_22rocsparse_matrix_type_20rocsparse_fill_mode_23rocsparse_storage_mode_P22rocsparse_data_status_.private_seg_size, 0
	.set _ZN9rocsparseL23check_matrix_csr_deviceILj256ELj32EdllEEvT3_S1_T2_PKT1_PKS2_PKS1_S9_21rocsparse_index_base_22rocsparse_matrix_type_20rocsparse_fill_mode_23rocsparse_storage_mode_P22rocsparse_data_status_.uses_vcc, 1
	.set _ZN9rocsparseL23check_matrix_csr_deviceILj256ELj32EdllEEvT3_S1_T2_PKT1_PKS2_PKS1_S9_21rocsparse_index_base_22rocsparse_matrix_type_20rocsparse_fill_mode_23rocsparse_storage_mode_P22rocsparse_data_status_.uses_flat_scratch, 0
	.set _ZN9rocsparseL23check_matrix_csr_deviceILj256ELj32EdllEEvT3_S1_T2_PKT1_PKS2_PKS1_S9_21rocsparse_index_base_22rocsparse_matrix_type_20rocsparse_fill_mode_23rocsparse_storage_mode_P22rocsparse_data_status_.has_dyn_sized_stack, 0
	.set _ZN9rocsparseL23check_matrix_csr_deviceILj256ELj32EdllEEvT3_S1_T2_PKT1_PKS2_PKS1_S9_21rocsparse_index_base_22rocsparse_matrix_type_20rocsparse_fill_mode_23rocsparse_storage_mode_P22rocsparse_data_status_.has_recursion, 0
	.set _ZN9rocsparseL23check_matrix_csr_deviceILj256ELj32EdllEEvT3_S1_T2_PKT1_PKS2_PKS1_S9_21rocsparse_index_base_22rocsparse_matrix_type_20rocsparse_fill_mode_23rocsparse_storage_mode_P22rocsparse_data_status_.has_indirect_call, 0
	.section	.AMDGPU.csdata,"",@progbits
; Kernel info:
; codeLenInByte = 1048
; TotalNumSgprs: 27
; NumVgprs: 24
; ScratchSize: 0
; MemoryBound: 0
; FloatMode: 240
; IeeeMode: 1
; LDSByteSize: 0 bytes/workgroup (compile time only)
; SGPRBlocks: 0
; VGPRBlocks: 1
; NumSGPRsForWavesPerEU: 27
; NumVGPRsForWavesPerEU: 24
; NamedBarCnt: 0
; Occupancy: 16
; WaveLimiterHint : 0
; COMPUTE_PGM_RSRC2:SCRATCH_EN: 0
; COMPUTE_PGM_RSRC2:USER_SGPR: 2
; COMPUTE_PGM_RSRC2:TRAP_HANDLER: 0
; COMPUTE_PGM_RSRC2:TGID_X_EN: 1
; COMPUTE_PGM_RSRC2:TGID_Y_EN: 0
; COMPUTE_PGM_RSRC2:TGID_Z_EN: 0
; COMPUTE_PGM_RSRC2:TIDIG_COMP_CNT: 0
	.section	.text._ZN9rocsparseL23check_matrix_csr_deviceILj256ELj64EdllEEvT3_S1_T2_PKT1_PKS2_PKS1_S9_21rocsparse_index_base_22rocsparse_matrix_type_20rocsparse_fill_mode_23rocsparse_storage_mode_P22rocsparse_data_status_,"axG",@progbits,_ZN9rocsparseL23check_matrix_csr_deviceILj256ELj64EdllEEvT3_S1_T2_PKT1_PKS2_PKS1_S9_21rocsparse_index_base_22rocsparse_matrix_type_20rocsparse_fill_mode_23rocsparse_storage_mode_P22rocsparse_data_status_,comdat
	.globl	_ZN9rocsparseL23check_matrix_csr_deviceILj256ELj64EdllEEvT3_S1_T2_PKT1_PKS2_PKS1_S9_21rocsparse_index_base_22rocsparse_matrix_type_20rocsparse_fill_mode_23rocsparse_storage_mode_P22rocsparse_data_status_ ; -- Begin function _ZN9rocsparseL23check_matrix_csr_deviceILj256ELj64EdllEEvT3_S1_T2_PKT1_PKS2_PKS1_S9_21rocsparse_index_base_22rocsparse_matrix_type_20rocsparse_fill_mode_23rocsparse_storage_mode_P22rocsparse_data_status_
	.p2align	8
	.type	_ZN9rocsparseL23check_matrix_csr_deviceILj256ELj64EdllEEvT3_S1_T2_PKT1_PKS2_PKS1_S9_21rocsparse_index_base_22rocsparse_matrix_type_20rocsparse_fill_mode_23rocsparse_storage_mode_P22rocsparse_data_status_,@function
_ZN9rocsparseL23check_matrix_csr_deviceILj256ELj64EdllEEvT3_S1_T2_PKT1_PKS2_PKS1_S9_21rocsparse_index_base_22rocsparse_matrix_type_20rocsparse_fill_mode_23rocsparse_storage_mode_P22rocsparse_data_status_: ; @_ZN9rocsparseL23check_matrix_csr_deviceILj256ELj64EdllEEvT3_S1_T2_PKT1_PKS2_PKS1_S9_21rocsparse_index_base_22rocsparse_matrix_type_20rocsparse_fill_mode_23rocsparse_storage_mode_P22rocsparse_data_status_
; %bb.0:
	s_bfe_u32 s2, ttmp6, 0x4000c
	s_load_b128 s[4:7], s[0:1], 0x0
	s_add_co_i32 s2, s2, 1
	s_and_b32 s3, ttmp6, 15
	s_mul_i32 s2, ttmp9, s2
	s_getreg_b32 s8, hwreg(HW_REG_IB_STS2, 6, 4)
	s_add_co_i32 s3, s3, s2
	s_cmp_eq_u32 s8, 0
	v_mov_b32_e32 v3, 0
	s_cselect_b32 s2, ttmp9, s3
	s_delay_alu instid0(SALU_CYCLE_1) | instskip(SKIP_1) | instid1(VALU_DEP_1)
	v_lshl_or_b32 v1, s2, 8, v0
	s_mov_b32 s2, exec_lo
	v_lshrrev_b32_e32 v2, 6, v1
	s_wait_kmcnt 0x0
	s_delay_alu instid0(VALU_DEP_1)
	v_cmpx_gt_i64_e64 s[4:5], v[2:3]
	s_cbranch_execz .LBB73_31
; %bb.1:
	s_load_b64 s[2:3], s[0:1], 0x20
	v_dual_mov_b32 v20, 3 :: v_dual_lshlrev_b32 v1, 3, v2
	s_wait_kmcnt 0x0
	global_load_b128 v[8:11], v1, s[2:3]
	s_wait_xcnt 0x0
	s_load_b64 s[2:3], s[2:3], 0x0
	s_wait_loadcnt 0x0
	s_wait_kmcnt 0x0
	v_sub_nc_u64_e64 v[4:5], v[10:11], s[2:3]
	v_sub_nc_u64_e64 v[6:7], v[8:9], s[2:3]
	v_cmp_lt_i64_e64 s2, v[10:11], v[8:9]
	s_delay_alu instid0(VALU_DEP_3) | instskip(NEXT) | instid1(VALU_DEP_3)
	v_cmp_gt_i64_e32 vcc_lo, 0, v[4:5]
	v_cmp_lt_i64_e64 s3, -1, v[6:7]
	s_or_b32 s2, vcc_lo, s2
	s_delay_alu instid0(SALU_CYCLE_1) | instskip(SKIP_2) | instid1(SALU_CYCLE_1)
	s_xor_b32 s4, s2, -1
	s_mov_b32 s2, -1
	s_and_b32 s3, s3, s4
	s_and_saveexec_b32 s8, s3
	s_cbranch_execz .LBB73_29
; %bb.2:
	v_dual_mov_b32 v1, 0 :: v_dual_bitop2_b32 v0, 63, v0 bitop3:0x40
	v_mov_b32_e32 v20, 3
	s_mov_b32 s2, 0
	s_mov_b32 s9, exec_lo
	s_delay_alu instid0(VALU_DEP_2) | instskip(NEXT) | instid1(VALU_DEP_1)
	v_add_nc_u64_e32 v[0:1], v[6:7], v[0:1]
	v_cmpx_lt_u64_e64 v[0:1], v[4:5]
	s_cbranch_execz .LBB73_28
; %bb.3:
	s_clause 0x1
	s_load_b256 s[12:19], s[0:1], 0x28
	s_load_b64 s[2:3], s[0:1], 0x18
	v_lshlrev_b64_e32 v[12:13], 3, v[0:1]
	s_mov_b32 s5, 0
	s_wait_kmcnt 0x0
	s_delay_alu instid0(VALU_DEP_1)
	v_add_nc_u64_e32 v[10:11], s[14:15], v[12:13]
	s_cmp_lg_u32 s17, 0
	v_add_nc_u64_e32 v[8:9], s[2:3], v[12:13]
	v_add_nc_u64_e32 v[12:13], s[12:13], v[12:13]
	s_cselect_b32 s10, -1, 0
	s_cmp_lg_u32 s18, 0
	s_mov_b32 s4, s16
	v_add_nc_u64_e32 v[10:11], -8, v[10:11]
	s_cselect_b32 s11, -1, 0
	s_cmp_lg_u32 s19, 0
	s_mov_b32 s13, s5
	s_cselect_b32 s12, -1, 0
                                        ; implicit-def: $sgpr14
                                        ; implicit-def: $sgpr15
                                        ; implicit-def: $sgpr16
	s_branch .LBB73_10
.LBB73_4:                               ;   in Loop: Header=BB73_10 Depth=1
	s_or_b32 exec_lo, exec_lo, s3
	s_delay_alu instid0(SALU_CYCLE_1)
	s_or_not1_b32 s24, s2, exec_lo
	s_or_not1_b32 s2, s21, exec_lo
.LBB73_5:                               ;   in Loop: Header=BB73_10 Depth=1
	s_or_b32 exec_lo, exec_lo, s22
	s_delay_alu instid0(SALU_CYCLE_1)
	s_or_not1_b32 s3, s24, exec_lo
	s_or_not1_b32 s2, s2, exec_lo
.LBB73_6:                               ;   in Loop: Header=BB73_10 Depth=1
	s_or_b32 exec_lo, exec_lo, s20
	s_delay_alu instid0(SALU_CYCLE_1)
	s_or_not1_b32 s3, s3, exec_lo
	s_or_not1_b32 s2, s2, exec_lo
.LBB73_7:                               ;   in Loop: Header=BB73_10 Depth=1
	s_or_b32 exec_lo, exec_lo, s19
	s_delay_alu instid0(SALU_CYCLE_1)
	s_or_not1_b32 s3, s3, exec_lo
	s_or_not1_b32 s2, s2, exec_lo
.LBB73_8:                               ;   in Loop: Header=BB73_10 Depth=1
	s_or_b32 exec_lo, exec_lo, s18
	s_delay_alu instid0(SALU_CYCLE_1)
	s_and_not1_b32 s16, s16, exec_lo
	s_and_b32 s3, s3, exec_lo
	s_and_not1_b32 s15, s15, exec_lo
	s_and_b32 s2, s2, exec_lo
	s_or_b32 s16, s16, s3
	s_or_b32 s15, s15, s2
.LBB73_9:                               ;   in Loop: Header=BB73_10 Depth=1
	s_or_b32 exec_lo, exec_lo, s17
	s_delay_alu instid0(SALU_CYCLE_1) | instskip(NEXT) | instid1(SALU_CYCLE_1)
	s_and_b32 s2, exec_lo, s15
	s_or_b32 s13, s2, s13
	s_and_not1_b32 s2, s14, exec_lo
	s_and_b32 s3, s16, exec_lo
	s_delay_alu instid0(SALU_CYCLE_1)
	s_or_b32 s14, s2, s3
	s_and_not1_b32 exec_lo, exec_lo, s13
	s_cbranch_execz .LBB73_27
.LBB73_10:                              ; =>This Inner Loop Header: Depth=1
	global_load_b64 v[14:15], v[12:13], off
	v_mov_b32_e32 v20, 4
	s_or_b32 s16, s16, exec_lo
	s_or_b32 s15, s15, exec_lo
	s_wait_loadcnt 0x0
	v_sub_nc_u64_e64 v[16:17], v[14:15], s[4:5]
	s_delay_alu instid0(VALU_DEP_1) | instskip(SKIP_2) | instid1(SALU_CYCLE_1)
	v_cmp_lt_i64_e32 vcc_lo, -1, v[16:17]
	v_cmp_gt_i64_e64 s2, s[6:7], v[16:17]
	s_and_b32 s2, vcc_lo, s2
	s_and_saveexec_b32 s17, s2
	s_cbranch_execz .LBB73_9
; %bb.11:                               ;   in Loop: Header=BB73_10 Depth=1
	v_cmp_le_i64_e64 s21, v[0:1], v[6:7]
	v_mov_b32_e32 v20, 4
	s_mov_b32 s18, exec_lo
	s_mov_b32 s19, s21
	v_cmpx_gt_i64_e64 v[0:1], v[6:7]
	s_cbranch_execz .LBB73_13
; %bb.12:                               ;   in Loop: Header=BB73_10 Depth=1
	global_load_b128 v[18:21], v[10:11], off
	s_wait_loadcnt 0x0
	v_sub_nc_u64_e64 v[22:23], v[18:19], s[4:5]
	v_cmp_ne_u64_e64 s3, v[20:21], v[18:19]
	v_mov_b32_e32 v20, 5
	s_delay_alu instid0(VALU_DEP_3) | instskip(SKIP_2) | instid1(SALU_CYCLE_1)
	v_cmp_lt_i64_e32 vcc_lo, -1, v[22:23]
	v_cmp_gt_i64_e64 s2, s[6:7], v[22:23]
	s_and_b32 s2, vcc_lo, s2
	s_xor_b32 s2, s2, -1
	s_delay_alu instid0(SALU_CYCLE_1) | instskip(SKIP_2) | instid1(SALU_CYCLE_1)
	s_or_b32 s2, s3, s2
	s_and_not1_b32 s3, s21, exec_lo
	s_and_b32 s2, s2, exec_lo
	s_or_b32 s19, s3, s2
.LBB73_13:                              ;   in Loop: Header=BB73_10 Depth=1
	s_or_b32 exec_lo, exec_lo, s18
	s_mov_b32 s2, -1
	s_mov_b32 s3, -1
	s_and_saveexec_b32 s18, s19
	s_cbranch_execz .LBB73_8
; %bb.14:                               ;   in Loop: Header=BB73_10 Depth=1
	global_load_b64 v[18:19], v[8:9], off
	v_mov_b32_e32 v20, 1
	s_mov_b32 s19, exec_lo
	s_wait_loadcnt 0x0
	v_cmpx_neq_f64_e32 0x7ff00000, v[18:19]
	s_cbranch_execz .LBB73_7
; %bb.15:                               ;   in Loop: Header=BB73_10 Depth=1
	v_mov_b32_e32 v20, 2
	s_mov_b32 s20, exec_lo
	v_cmpx_o_f64_e32 v[18:19], v[18:19]
	s_cbranch_execz .LBB73_6
; %bb.16:                               ;   in Loop: Header=BB73_10 Depth=1
	s_and_b32 vcc_lo, exec_lo, s10
	s_cbranch_vccz .LBB73_19
; %bb.17:                               ;   in Loop: Header=BB73_10 Depth=1
	s_and_b32 vcc_lo, exec_lo, s11
	s_cbranch_vccz .LBB73_20
; %bb.18:                               ;   in Loop: Header=BB73_10 Depth=1
	v_cmp_ge_i64_e32 vcc_lo, v[16:17], v[2:3]
	s_mov_b32 s3, 7
	s_and_b32 s23, vcc_lo, exec_lo
	s_cbranch_execz .LBB73_21
	s_branch .LBB73_22
.LBB73_19:                              ;   in Loop: Header=BB73_10 Depth=1
	s_mov_b32 s3, 2
	s_mov_b32 s23, -1
	s_branch .LBB73_22
.LBB73_20:                              ;   in Loop: Header=BB73_10 Depth=1
	s_mov_b32 s23, 0
	s_mov_b32 s3, 2
.LBB73_21:                              ;   in Loop: Header=BB73_10 Depth=1
	v_cmp_le_i64_e32 vcc_lo, v[16:17], v[2:3]
	s_and_not1_b32 s22, s23, exec_lo
	s_mov_b32 s3, 7
	s_and_b32 s23, vcc_lo, exec_lo
	s_delay_alu instid0(SALU_CYCLE_1)
	s_or_b32 s23, s22, s23
.LBB73_22:                              ;   in Loop: Header=BB73_10 Depth=1
	v_mov_b32_e32 v20, s3
	s_mov_b32 s24, -1
	s_and_saveexec_b32 s22, s23
	s_cbranch_execz .LBB73_5
; %bb.23:                               ;   in Loop: Header=BB73_10 Depth=1
	v_mov_b32_e32 v20, s3
	s_nor_b32 s2, s12, s21
	s_mov_b32 s21, -1
	s_and_saveexec_b32 s23, s2
	s_cbranch_execz .LBB73_25
; %bb.24:                               ;   in Loop: Header=BB73_10 Depth=1
	global_load_b64 v[16:17], v[12:13], off offset:-8
	v_mov_b32_e32 v20, 6
	s_wait_loadcnt 0x0
	v_sub_nc_u64_e64 v[18:19], v[16:17], s[4:5]
	v_cmp_gt_i64_e64 s3, v[14:15], v[16:17]
	s_delay_alu instid0(VALU_DEP_2) | instskip(SKIP_2) | instid1(SALU_CYCLE_1)
	v_cmp_lt_i64_e32 vcc_lo, -1, v[18:19]
	v_cmp_gt_i64_e64 s2, s[6:7], v[18:19]
	s_and_b32 s2, vcc_lo, s2
	s_xor_b32 s2, s2, -1
	s_delay_alu instid0(SALU_CYCLE_1) | instskip(NEXT) | instid1(SALU_CYCLE_1)
	s_or_b32 s2, s3, s2
	s_or_not1_b32 s24, s2, exec_lo
.LBB73_25:                              ;   in Loop: Header=BB73_10 Depth=1
	s_or_b32 exec_lo, exec_lo, s23
	s_mov_b32 s2, -1
	s_and_saveexec_b32 s3, s24
	s_cbranch_execz .LBB73_4
; %bb.26:                               ;   in Loop: Header=BB73_10 Depth=1
	v_add_nc_u64_e32 v[0:1], 64, v[0:1]
	v_add_nc_u64_e32 v[10:11], 0x200, v[10:11]
	;; [unrolled: 1-line block ×4, first 2 shown]
	s_xor_b32 s2, exec_lo, -1
	s_delay_alu instid0(VALU_DEP_4)
	v_cmp_ge_i64_e32 vcc_lo, v[0:1], v[4:5]
	s_or_not1_b32 s21, vcc_lo, exec_lo
	s_branch .LBB73_4
.LBB73_27:
	s_or_b32 exec_lo, exec_lo, s13
	s_delay_alu instid0(SALU_CYCLE_1)
	s_and_b32 s2, s14, exec_lo
.LBB73_28:
	s_or_b32 exec_lo, exec_lo, s9
	s_delay_alu instid0(SALU_CYCLE_1)
	s_or_not1_b32 s2, s2, exec_lo
.LBB73_29:
	s_or_b32 exec_lo, exec_lo, s8
	s_delay_alu instid0(SALU_CYCLE_1)
	s_and_b32 exec_lo, exec_lo, s2
	s_cbranch_execz .LBB73_31
; %bb.30:
	s_load_b64 s[0:1], s[0:1], 0x48
	v_mov_b32_e32 v0, 0
	s_wait_kmcnt 0x0
	global_store_b32 v0, v20, s[0:1]
.LBB73_31:
	s_endpgm
	.section	.rodata,"a",@progbits
	.p2align	6, 0x0
	.amdhsa_kernel _ZN9rocsparseL23check_matrix_csr_deviceILj256ELj64EdllEEvT3_S1_T2_PKT1_PKS2_PKS1_S9_21rocsparse_index_base_22rocsparse_matrix_type_20rocsparse_fill_mode_23rocsparse_storage_mode_P22rocsparse_data_status_
		.amdhsa_group_segment_fixed_size 0
		.amdhsa_private_segment_fixed_size 0
		.amdhsa_kernarg_size 80
		.amdhsa_user_sgpr_count 2
		.amdhsa_user_sgpr_dispatch_ptr 0
		.amdhsa_user_sgpr_queue_ptr 0
		.amdhsa_user_sgpr_kernarg_segment_ptr 1
		.amdhsa_user_sgpr_dispatch_id 0
		.amdhsa_user_sgpr_kernarg_preload_length 0
		.amdhsa_user_sgpr_kernarg_preload_offset 0
		.amdhsa_user_sgpr_private_segment_size 0
		.amdhsa_wavefront_size32 1
		.amdhsa_uses_dynamic_stack 0
		.amdhsa_enable_private_segment 0
		.amdhsa_system_sgpr_workgroup_id_x 1
		.amdhsa_system_sgpr_workgroup_id_y 0
		.amdhsa_system_sgpr_workgroup_id_z 0
		.amdhsa_system_sgpr_workgroup_info 0
		.amdhsa_system_vgpr_workitem_id 0
		.amdhsa_next_free_vgpr 24
		.amdhsa_next_free_sgpr 25
		.amdhsa_named_barrier_count 0
		.amdhsa_reserve_vcc 1
		.amdhsa_float_round_mode_32 0
		.amdhsa_float_round_mode_16_64 0
		.amdhsa_float_denorm_mode_32 3
		.amdhsa_float_denorm_mode_16_64 3
		.amdhsa_fp16_overflow 0
		.amdhsa_memory_ordered 1
		.amdhsa_forward_progress 1
		.amdhsa_inst_pref_size 9
		.amdhsa_round_robin_scheduling 0
		.amdhsa_exception_fp_ieee_invalid_op 0
		.amdhsa_exception_fp_denorm_src 0
		.amdhsa_exception_fp_ieee_div_zero 0
		.amdhsa_exception_fp_ieee_overflow 0
		.amdhsa_exception_fp_ieee_underflow 0
		.amdhsa_exception_fp_ieee_inexact 0
		.amdhsa_exception_int_div_zero 0
	.end_amdhsa_kernel
	.section	.text._ZN9rocsparseL23check_matrix_csr_deviceILj256ELj64EdllEEvT3_S1_T2_PKT1_PKS2_PKS1_S9_21rocsparse_index_base_22rocsparse_matrix_type_20rocsparse_fill_mode_23rocsparse_storage_mode_P22rocsparse_data_status_,"axG",@progbits,_ZN9rocsparseL23check_matrix_csr_deviceILj256ELj64EdllEEvT3_S1_T2_PKT1_PKS2_PKS1_S9_21rocsparse_index_base_22rocsparse_matrix_type_20rocsparse_fill_mode_23rocsparse_storage_mode_P22rocsparse_data_status_,comdat
.Lfunc_end73:
	.size	_ZN9rocsparseL23check_matrix_csr_deviceILj256ELj64EdllEEvT3_S1_T2_PKT1_PKS2_PKS1_S9_21rocsparse_index_base_22rocsparse_matrix_type_20rocsparse_fill_mode_23rocsparse_storage_mode_P22rocsparse_data_status_, .Lfunc_end73-_ZN9rocsparseL23check_matrix_csr_deviceILj256ELj64EdllEEvT3_S1_T2_PKT1_PKS2_PKS1_S9_21rocsparse_index_base_22rocsparse_matrix_type_20rocsparse_fill_mode_23rocsparse_storage_mode_P22rocsparse_data_status_
                                        ; -- End function
	.set _ZN9rocsparseL23check_matrix_csr_deviceILj256ELj64EdllEEvT3_S1_T2_PKT1_PKS2_PKS1_S9_21rocsparse_index_base_22rocsparse_matrix_type_20rocsparse_fill_mode_23rocsparse_storage_mode_P22rocsparse_data_status_.num_vgpr, 24
	.set _ZN9rocsparseL23check_matrix_csr_deviceILj256ELj64EdllEEvT3_S1_T2_PKT1_PKS2_PKS1_S9_21rocsparse_index_base_22rocsparse_matrix_type_20rocsparse_fill_mode_23rocsparse_storage_mode_P22rocsparse_data_status_.num_agpr, 0
	.set _ZN9rocsparseL23check_matrix_csr_deviceILj256ELj64EdllEEvT3_S1_T2_PKT1_PKS2_PKS1_S9_21rocsparse_index_base_22rocsparse_matrix_type_20rocsparse_fill_mode_23rocsparse_storage_mode_P22rocsparse_data_status_.numbered_sgpr, 25
	.set _ZN9rocsparseL23check_matrix_csr_deviceILj256ELj64EdllEEvT3_S1_T2_PKT1_PKS2_PKS1_S9_21rocsparse_index_base_22rocsparse_matrix_type_20rocsparse_fill_mode_23rocsparse_storage_mode_P22rocsparse_data_status_.num_named_barrier, 0
	.set _ZN9rocsparseL23check_matrix_csr_deviceILj256ELj64EdllEEvT3_S1_T2_PKT1_PKS2_PKS1_S9_21rocsparse_index_base_22rocsparse_matrix_type_20rocsparse_fill_mode_23rocsparse_storage_mode_P22rocsparse_data_status_.private_seg_size, 0
	.set _ZN9rocsparseL23check_matrix_csr_deviceILj256ELj64EdllEEvT3_S1_T2_PKT1_PKS2_PKS1_S9_21rocsparse_index_base_22rocsparse_matrix_type_20rocsparse_fill_mode_23rocsparse_storage_mode_P22rocsparse_data_status_.uses_vcc, 1
	.set _ZN9rocsparseL23check_matrix_csr_deviceILj256ELj64EdllEEvT3_S1_T2_PKT1_PKS2_PKS1_S9_21rocsparse_index_base_22rocsparse_matrix_type_20rocsparse_fill_mode_23rocsparse_storage_mode_P22rocsparse_data_status_.uses_flat_scratch, 0
	.set _ZN9rocsparseL23check_matrix_csr_deviceILj256ELj64EdllEEvT3_S1_T2_PKT1_PKS2_PKS1_S9_21rocsparse_index_base_22rocsparse_matrix_type_20rocsparse_fill_mode_23rocsparse_storage_mode_P22rocsparse_data_status_.has_dyn_sized_stack, 0
	.set _ZN9rocsparseL23check_matrix_csr_deviceILj256ELj64EdllEEvT3_S1_T2_PKT1_PKS2_PKS1_S9_21rocsparse_index_base_22rocsparse_matrix_type_20rocsparse_fill_mode_23rocsparse_storage_mode_P22rocsparse_data_status_.has_recursion, 0
	.set _ZN9rocsparseL23check_matrix_csr_deviceILj256ELj64EdllEEvT3_S1_T2_PKT1_PKS2_PKS1_S9_21rocsparse_index_base_22rocsparse_matrix_type_20rocsparse_fill_mode_23rocsparse_storage_mode_P22rocsparse_data_status_.has_indirect_call, 0
	.section	.AMDGPU.csdata,"",@progbits
; Kernel info:
; codeLenInByte = 1048
; TotalNumSgprs: 27
; NumVgprs: 24
; ScratchSize: 0
; MemoryBound: 0
; FloatMode: 240
; IeeeMode: 1
; LDSByteSize: 0 bytes/workgroup (compile time only)
; SGPRBlocks: 0
; VGPRBlocks: 1
; NumSGPRsForWavesPerEU: 27
; NumVGPRsForWavesPerEU: 24
; NamedBarCnt: 0
; Occupancy: 16
; WaveLimiterHint : 0
; COMPUTE_PGM_RSRC2:SCRATCH_EN: 0
; COMPUTE_PGM_RSRC2:USER_SGPR: 2
; COMPUTE_PGM_RSRC2:TRAP_HANDLER: 0
; COMPUTE_PGM_RSRC2:TGID_X_EN: 1
; COMPUTE_PGM_RSRC2:TGID_Y_EN: 0
; COMPUTE_PGM_RSRC2:TGID_Z_EN: 0
; COMPUTE_PGM_RSRC2:TIDIG_COMP_CNT: 0
	.section	.text._ZN9rocsparseL23check_matrix_csr_deviceILj256ELj128EdllEEvT3_S1_T2_PKT1_PKS2_PKS1_S9_21rocsparse_index_base_22rocsparse_matrix_type_20rocsparse_fill_mode_23rocsparse_storage_mode_P22rocsparse_data_status_,"axG",@progbits,_ZN9rocsparseL23check_matrix_csr_deviceILj256ELj128EdllEEvT3_S1_T2_PKT1_PKS2_PKS1_S9_21rocsparse_index_base_22rocsparse_matrix_type_20rocsparse_fill_mode_23rocsparse_storage_mode_P22rocsparse_data_status_,comdat
	.globl	_ZN9rocsparseL23check_matrix_csr_deviceILj256ELj128EdllEEvT3_S1_T2_PKT1_PKS2_PKS1_S9_21rocsparse_index_base_22rocsparse_matrix_type_20rocsparse_fill_mode_23rocsparse_storage_mode_P22rocsparse_data_status_ ; -- Begin function _ZN9rocsparseL23check_matrix_csr_deviceILj256ELj128EdllEEvT3_S1_T2_PKT1_PKS2_PKS1_S9_21rocsparse_index_base_22rocsparse_matrix_type_20rocsparse_fill_mode_23rocsparse_storage_mode_P22rocsparse_data_status_
	.p2align	8
	.type	_ZN9rocsparseL23check_matrix_csr_deviceILj256ELj128EdllEEvT3_S1_T2_PKT1_PKS2_PKS1_S9_21rocsparse_index_base_22rocsparse_matrix_type_20rocsparse_fill_mode_23rocsparse_storage_mode_P22rocsparse_data_status_,@function
_ZN9rocsparseL23check_matrix_csr_deviceILj256ELj128EdllEEvT3_S1_T2_PKT1_PKS2_PKS1_S9_21rocsparse_index_base_22rocsparse_matrix_type_20rocsparse_fill_mode_23rocsparse_storage_mode_P22rocsparse_data_status_: ; @_ZN9rocsparseL23check_matrix_csr_deviceILj256ELj128EdllEEvT3_S1_T2_PKT1_PKS2_PKS1_S9_21rocsparse_index_base_22rocsparse_matrix_type_20rocsparse_fill_mode_23rocsparse_storage_mode_P22rocsparse_data_status_
; %bb.0:
	s_bfe_u32 s2, ttmp6, 0x4000c
	s_load_b128 s[4:7], s[0:1], 0x0
	s_add_co_i32 s2, s2, 1
	s_and_b32 s3, ttmp6, 15
	s_mul_i32 s2, ttmp9, s2
	s_getreg_b32 s8, hwreg(HW_REG_IB_STS2, 6, 4)
	s_add_co_i32 s3, s3, s2
	s_cmp_eq_u32 s8, 0
	v_mov_b32_e32 v3, 0
	s_cselect_b32 s2, ttmp9, s3
	s_delay_alu instid0(SALU_CYCLE_1) | instskip(SKIP_1) | instid1(VALU_DEP_1)
	v_lshl_or_b32 v1, s2, 8, v0
	s_mov_b32 s2, exec_lo
	v_lshrrev_b32_e32 v2, 7, v1
	s_wait_kmcnt 0x0
	s_delay_alu instid0(VALU_DEP_1)
	v_cmpx_gt_i64_e64 s[4:5], v[2:3]
	s_cbranch_execz .LBB74_31
; %bb.1:
	s_load_b64 s[2:3], s[0:1], 0x20
	v_dual_mov_b32 v20, 3 :: v_dual_lshlrev_b32 v1, 3, v2
	s_wait_kmcnt 0x0
	global_load_b128 v[8:11], v1, s[2:3]
	s_wait_xcnt 0x0
	s_load_b64 s[2:3], s[2:3], 0x0
	s_wait_loadcnt 0x0
	s_wait_kmcnt 0x0
	v_sub_nc_u64_e64 v[4:5], v[10:11], s[2:3]
	v_sub_nc_u64_e64 v[6:7], v[8:9], s[2:3]
	v_cmp_lt_i64_e64 s2, v[10:11], v[8:9]
	s_delay_alu instid0(VALU_DEP_3) | instskip(NEXT) | instid1(VALU_DEP_3)
	v_cmp_gt_i64_e32 vcc_lo, 0, v[4:5]
	v_cmp_lt_i64_e64 s3, -1, v[6:7]
	s_or_b32 s2, vcc_lo, s2
	s_delay_alu instid0(SALU_CYCLE_1) | instskip(SKIP_2) | instid1(SALU_CYCLE_1)
	s_xor_b32 s4, s2, -1
	s_mov_b32 s2, -1
	s_and_b32 s3, s3, s4
	s_and_saveexec_b32 s8, s3
	s_cbranch_execz .LBB74_29
; %bb.2:
	v_and_b32_e32 v0, 0x7f, v0
	v_dual_mov_b32 v1, 0 :: v_dual_mov_b32 v20, 3
	s_mov_b32 s2, 0
	s_mov_b32 s9, exec_lo
	s_delay_alu instid0(VALU_DEP_1) | instskip(NEXT) | instid1(VALU_DEP_1)
	v_add_nc_u64_e32 v[0:1], v[6:7], v[0:1]
	v_cmpx_lt_u64_e64 v[0:1], v[4:5]
	s_cbranch_execz .LBB74_28
; %bb.3:
	s_clause 0x1
	s_load_b256 s[12:19], s[0:1], 0x28
	s_load_b64 s[2:3], s[0:1], 0x18
	v_lshlrev_b64_e32 v[12:13], 3, v[0:1]
	s_mov_b32 s5, 0
	s_wait_kmcnt 0x0
	s_delay_alu instid0(VALU_DEP_1)
	v_add_nc_u64_e32 v[10:11], s[14:15], v[12:13]
	s_cmp_lg_u32 s17, 0
	v_add_nc_u64_e32 v[8:9], s[2:3], v[12:13]
	v_add_nc_u64_e32 v[12:13], s[12:13], v[12:13]
	s_cselect_b32 s10, -1, 0
	s_cmp_lg_u32 s18, 0
	s_mov_b32 s4, s16
	v_add_nc_u64_e32 v[10:11], -8, v[10:11]
	s_cselect_b32 s11, -1, 0
	s_cmp_lg_u32 s19, 0
	s_mov_b32 s13, s5
	s_cselect_b32 s12, -1, 0
                                        ; implicit-def: $sgpr14
                                        ; implicit-def: $sgpr15
                                        ; implicit-def: $sgpr16
	s_branch .LBB74_10
.LBB74_4:                               ;   in Loop: Header=BB74_10 Depth=1
	s_or_b32 exec_lo, exec_lo, s3
	s_delay_alu instid0(SALU_CYCLE_1)
	s_or_not1_b32 s24, s2, exec_lo
	s_or_not1_b32 s2, s21, exec_lo
.LBB74_5:                               ;   in Loop: Header=BB74_10 Depth=1
	s_or_b32 exec_lo, exec_lo, s22
	s_delay_alu instid0(SALU_CYCLE_1)
	s_or_not1_b32 s3, s24, exec_lo
	s_or_not1_b32 s2, s2, exec_lo
.LBB74_6:                               ;   in Loop: Header=BB74_10 Depth=1
	s_or_b32 exec_lo, exec_lo, s20
	s_delay_alu instid0(SALU_CYCLE_1)
	s_or_not1_b32 s3, s3, exec_lo
	s_or_not1_b32 s2, s2, exec_lo
.LBB74_7:                               ;   in Loop: Header=BB74_10 Depth=1
	s_or_b32 exec_lo, exec_lo, s19
	s_delay_alu instid0(SALU_CYCLE_1)
	s_or_not1_b32 s3, s3, exec_lo
	s_or_not1_b32 s2, s2, exec_lo
.LBB74_8:                               ;   in Loop: Header=BB74_10 Depth=1
	s_or_b32 exec_lo, exec_lo, s18
	s_delay_alu instid0(SALU_CYCLE_1)
	s_and_not1_b32 s16, s16, exec_lo
	s_and_b32 s3, s3, exec_lo
	s_and_not1_b32 s15, s15, exec_lo
	s_and_b32 s2, s2, exec_lo
	s_or_b32 s16, s16, s3
	s_or_b32 s15, s15, s2
.LBB74_9:                               ;   in Loop: Header=BB74_10 Depth=1
	s_or_b32 exec_lo, exec_lo, s17
	s_delay_alu instid0(SALU_CYCLE_1) | instskip(NEXT) | instid1(SALU_CYCLE_1)
	s_and_b32 s2, exec_lo, s15
	s_or_b32 s13, s2, s13
	s_and_not1_b32 s2, s14, exec_lo
	s_and_b32 s3, s16, exec_lo
	s_delay_alu instid0(SALU_CYCLE_1)
	s_or_b32 s14, s2, s3
	s_and_not1_b32 exec_lo, exec_lo, s13
	s_cbranch_execz .LBB74_27
.LBB74_10:                              ; =>This Inner Loop Header: Depth=1
	global_load_b64 v[14:15], v[12:13], off
	v_mov_b32_e32 v20, 4
	s_or_b32 s16, s16, exec_lo
	s_or_b32 s15, s15, exec_lo
	s_wait_loadcnt 0x0
	v_sub_nc_u64_e64 v[16:17], v[14:15], s[4:5]
	s_delay_alu instid0(VALU_DEP_1) | instskip(SKIP_2) | instid1(SALU_CYCLE_1)
	v_cmp_lt_i64_e32 vcc_lo, -1, v[16:17]
	v_cmp_gt_i64_e64 s2, s[6:7], v[16:17]
	s_and_b32 s2, vcc_lo, s2
	s_and_saveexec_b32 s17, s2
	s_cbranch_execz .LBB74_9
; %bb.11:                               ;   in Loop: Header=BB74_10 Depth=1
	v_cmp_le_i64_e64 s21, v[0:1], v[6:7]
	v_mov_b32_e32 v20, 4
	s_mov_b32 s18, exec_lo
	s_mov_b32 s19, s21
	v_cmpx_gt_i64_e64 v[0:1], v[6:7]
	s_cbranch_execz .LBB74_13
; %bb.12:                               ;   in Loop: Header=BB74_10 Depth=1
	global_load_b128 v[18:21], v[10:11], off
	s_wait_loadcnt 0x0
	v_sub_nc_u64_e64 v[22:23], v[18:19], s[4:5]
	v_cmp_ne_u64_e64 s3, v[20:21], v[18:19]
	v_mov_b32_e32 v20, 5
	s_delay_alu instid0(VALU_DEP_3) | instskip(SKIP_2) | instid1(SALU_CYCLE_1)
	v_cmp_lt_i64_e32 vcc_lo, -1, v[22:23]
	v_cmp_gt_i64_e64 s2, s[6:7], v[22:23]
	s_and_b32 s2, vcc_lo, s2
	s_xor_b32 s2, s2, -1
	s_delay_alu instid0(SALU_CYCLE_1) | instskip(SKIP_2) | instid1(SALU_CYCLE_1)
	s_or_b32 s2, s3, s2
	s_and_not1_b32 s3, s21, exec_lo
	s_and_b32 s2, s2, exec_lo
	s_or_b32 s19, s3, s2
.LBB74_13:                              ;   in Loop: Header=BB74_10 Depth=1
	s_or_b32 exec_lo, exec_lo, s18
	s_mov_b32 s2, -1
	s_mov_b32 s3, -1
	s_and_saveexec_b32 s18, s19
	s_cbranch_execz .LBB74_8
; %bb.14:                               ;   in Loop: Header=BB74_10 Depth=1
	global_load_b64 v[18:19], v[8:9], off
	v_mov_b32_e32 v20, 1
	s_mov_b32 s19, exec_lo
	s_wait_loadcnt 0x0
	v_cmpx_neq_f64_e32 0x7ff00000, v[18:19]
	s_cbranch_execz .LBB74_7
; %bb.15:                               ;   in Loop: Header=BB74_10 Depth=1
	v_mov_b32_e32 v20, 2
	s_mov_b32 s20, exec_lo
	v_cmpx_o_f64_e32 v[18:19], v[18:19]
	s_cbranch_execz .LBB74_6
; %bb.16:                               ;   in Loop: Header=BB74_10 Depth=1
	s_and_b32 vcc_lo, exec_lo, s10
	s_cbranch_vccz .LBB74_19
; %bb.17:                               ;   in Loop: Header=BB74_10 Depth=1
	s_and_b32 vcc_lo, exec_lo, s11
	s_cbranch_vccz .LBB74_20
; %bb.18:                               ;   in Loop: Header=BB74_10 Depth=1
	v_cmp_ge_i64_e32 vcc_lo, v[16:17], v[2:3]
	s_mov_b32 s3, 7
	s_and_b32 s23, vcc_lo, exec_lo
	s_cbranch_execz .LBB74_21
	s_branch .LBB74_22
.LBB74_19:                              ;   in Loop: Header=BB74_10 Depth=1
	s_mov_b32 s3, 2
	s_mov_b32 s23, -1
	s_branch .LBB74_22
.LBB74_20:                              ;   in Loop: Header=BB74_10 Depth=1
	s_mov_b32 s23, 0
	s_mov_b32 s3, 2
.LBB74_21:                              ;   in Loop: Header=BB74_10 Depth=1
	v_cmp_le_i64_e32 vcc_lo, v[16:17], v[2:3]
	s_and_not1_b32 s22, s23, exec_lo
	s_mov_b32 s3, 7
	s_and_b32 s23, vcc_lo, exec_lo
	s_delay_alu instid0(SALU_CYCLE_1)
	s_or_b32 s23, s22, s23
.LBB74_22:                              ;   in Loop: Header=BB74_10 Depth=1
	v_mov_b32_e32 v20, s3
	s_mov_b32 s24, -1
	s_and_saveexec_b32 s22, s23
	s_cbranch_execz .LBB74_5
; %bb.23:                               ;   in Loop: Header=BB74_10 Depth=1
	v_mov_b32_e32 v20, s3
	s_nor_b32 s2, s12, s21
	s_mov_b32 s21, -1
	s_and_saveexec_b32 s23, s2
	s_cbranch_execz .LBB74_25
; %bb.24:                               ;   in Loop: Header=BB74_10 Depth=1
	global_load_b64 v[16:17], v[12:13], off offset:-8
	v_mov_b32_e32 v20, 6
	s_wait_loadcnt 0x0
	v_sub_nc_u64_e64 v[18:19], v[16:17], s[4:5]
	v_cmp_gt_i64_e64 s3, v[14:15], v[16:17]
	s_delay_alu instid0(VALU_DEP_2) | instskip(SKIP_2) | instid1(SALU_CYCLE_1)
	v_cmp_lt_i64_e32 vcc_lo, -1, v[18:19]
	v_cmp_gt_i64_e64 s2, s[6:7], v[18:19]
	s_and_b32 s2, vcc_lo, s2
	s_xor_b32 s2, s2, -1
	s_delay_alu instid0(SALU_CYCLE_1) | instskip(NEXT) | instid1(SALU_CYCLE_1)
	s_or_b32 s2, s3, s2
	s_or_not1_b32 s24, s2, exec_lo
.LBB74_25:                              ;   in Loop: Header=BB74_10 Depth=1
	s_or_b32 exec_lo, exec_lo, s23
	s_mov_b32 s2, -1
	s_and_saveexec_b32 s3, s24
	s_cbranch_execz .LBB74_4
; %bb.26:                               ;   in Loop: Header=BB74_10 Depth=1
	v_add_nc_u64_e32 v[0:1], 0x80, v[0:1]
	v_add_nc_u64_e32 v[10:11], 0x400, v[10:11]
	;; [unrolled: 1-line block ×4, first 2 shown]
	s_xor_b32 s2, exec_lo, -1
	s_delay_alu instid0(VALU_DEP_4)
	v_cmp_ge_i64_e32 vcc_lo, v[0:1], v[4:5]
	s_or_not1_b32 s21, vcc_lo, exec_lo
	s_branch .LBB74_4
.LBB74_27:
	s_or_b32 exec_lo, exec_lo, s13
	s_delay_alu instid0(SALU_CYCLE_1)
	s_and_b32 s2, s14, exec_lo
.LBB74_28:
	s_or_b32 exec_lo, exec_lo, s9
	s_delay_alu instid0(SALU_CYCLE_1)
	s_or_not1_b32 s2, s2, exec_lo
.LBB74_29:
	s_or_b32 exec_lo, exec_lo, s8
	s_delay_alu instid0(SALU_CYCLE_1)
	s_and_b32 exec_lo, exec_lo, s2
	s_cbranch_execz .LBB74_31
; %bb.30:
	s_load_b64 s[0:1], s[0:1], 0x48
	v_mov_b32_e32 v0, 0
	s_wait_kmcnt 0x0
	global_store_b32 v0, v20, s[0:1]
.LBB74_31:
	s_endpgm
	.section	.rodata,"a",@progbits
	.p2align	6, 0x0
	.amdhsa_kernel _ZN9rocsparseL23check_matrix_csr_deviceILj256ELj128EdllEEvT3_S1_T2_PKT1_PKS2_PKS1_S9_21rocsparse_index_base_22rocsparse_matrix_type_20rocsparse_fill_mode_23rocsparse_storage_mode_P22rocsparse_data_status_
		.amdhsa_group_segment_fixed_size 0
		.amdhsa_private_segment_fixed_size 0
		.amdhsa_kernarg_size 80
		.amdhsa_user_sgpr_count 2
		.amdhsa_user_sgpr_dispatch_ptr 0
		.amdhsa_user_sgpr_queue_ptr 0
		.amdhsa_user_sgpr_kernarg_segment_ptr 1
		.amdhsa_user_sgpr_dispatch_id 0
		.amdhsa_user_sgpr_kernarg_preload_length 0
		.amdhsa_user_sgpr_kernarg_preload_offset 0
		.amdhsa_user_sgpr_private_segment_size 0
		.amdhsa_wavefront_size32 1
		.amdhsa_uses_dynamic_stack 0
		.amdhsa_enable_private_segment 0
		.amdhsa_system_sgpr_workgroup_id_x 1
		.amdhsa_system_sgpr_workgroup_id_y 0
		.amdhsa_system_sgpr_workgroup_id_z 0
		.amdhsa_system_sgpr_workgroup_info 0
		.amdhsa_system_vgpr_workitem_id 0
		.amdhsa_next_free_vgpr 24
		.amdhsa_next_free_sgpr 25
		.amdhsa_named_barrier_count 0
		.amdhsa_reserve_vcc 1
		.amdhsa_float_round_mode_32 0
		.amdhsa_float_round_mode_16_64 0
		.amdhsa_float_denorm_mode_32 3
		.amdhsa_float_denorm_mode_16_64 3
		.amdhsa_fp16_overflow 0
		.amdhsa_memory_ordered 1
		.amdhsa_forward_progress 1
		.amdhsa_inst_pref_size 9
		.amdhsa_round_robin_scheduling 0
		.amdhsa_exception_fp_ieee_invalid_op 0
		.amdhsa_exception_fp_denorm_src 0
		.amdhsa_exception_fp_ieee_div_zero 0
		.amdhsa_exception_fp_ieee_overflow 0
		.amdhsa_exception_fp_ieee_underflow 0
		.amdhsa_exception_fp_ieee_inexact 0
		.amdhsa_exception_int_div_zero 0
	.end_amdhsa_kernel
	.section	.text._ZN9rocsparseL23check_matrix_csr_deviceILj256ELj128EdllEEvT3_S1_T2_PKT1_PKS2_PKS1_S9_21rocsparse_index_base_22rocsparse_matrix_type_20rocsparse_fill_mode_23rocsparse_storage_mode_P22rocsparse_data_status_,"axG",@progbits,_ZN9rocsparseL23check_matrix_csr_deviceILj256ELj128EdllEEvT3_S1_T2_PKT1_PKS2_PKS1_S9_21rocsparse_index_base_22rocsparse_matrix_type_20rocsparse_fill_mode_23rocsparse_storage_mode_P22rocsparse_data_status_,comdat
.Lfunc_end74:
	.size	_ZN9rocsparseL23check_matrix_csr_deviceILj256ELj128EdllEEvT3_S1_T2_PKT1_PKS2_PKS1_S9_21rocsparse_index_base_22rocsparse_matrix_type_20rocsparse_fill_mode_23rocsparse_storage_mode_P22rocsparse_data_status_, .Lfunc_end74-_ZN9rocsparseL23check_matrix_csr_deviceILj256ELj128EdllEEvT3_S1_T2_PKT1_PKS2_PKS1_S9_21rocsparse_index_base_22rocsparse_matrix_type_20rocsparse_fill_mode_23rocsparse_storage_mode_P22rocsparse_data_status_
                                        ; -- End function
	.set _ZN9rocsparseL23check_matrix_csr_deviceILj256ELj128EdllEEvT3_S1_T2_PKT1_PKS2_PKS1_S9_21rocsparse_index_base_22rocsparse_matrix_type_20rocsparse_fill_mode_23rocsparse_storage_mode_P22rocsparse_data_status_.num_vgpr, 24
	.set _ZN9rocsparseL23check_matrix_csr_deviceILj256ELj128EdllEEvT3_S1_T2_PKT1_PKS2_PKS1_S9_21rocsparse_index_base_22rocsparse_matrix_type_20rocsparse_fill_mode_23rocsparse_storage_mode_P22rocsparse_data_status_.num_agpr, 0
	.set _ZN9rocsparseL23check_matrix_csr_deviceILj256ELj128EdllEEvT3_S1_T2_PKT1_PKS2_PKS1_S9_21rocsparse_index_base_22rocsparse_matrix_type_20rocsparse_fill_mode_23rocsparse_storage_mode_P22rocsparse_data_status_.numbered_sgpr, 25
	.set _ZN9rocsparseL23check_matrix_csr_deviceILj256ELj128EdllEEvT3_S1_T2_PKT1_PKS2_PKS1_S9_21rocsparse_index_base_22rocsparse_matrix_type_20rocsparse_fill_mode_23rocsparse_storage_mode_P22rocsparse_data_status_.num_named_barrier, 0
	.set _ZN9rocsparseL23check_matrix_csr_deviceILj256ELj128EdllEEvT3_S1_T2_PKT1_PKS2_PKS1_S9_21rocsparse_index_base_22rocsparse_matrix_type_20rocsparse_fill_mode_23rocsparse_storage_mode_P22rocsparse_data_status_.private_seg_size, 0
	.set _ZN9rocsparseL23check_matrix_csr_deviceILj256ELj128EdllEEvT3_S1_T2_PKT1_PKS2_PKS1_S9_21rocsparse_index_base_22rocsparse_matrix_type_20rocsparse_fill_mode_23rocsparse_storage_mode_P22rocsparse_data_status_.uses_vcc, 1
	.set _ZN9rocsparseL23check_matrix_csr_deviceILj256ELj128EdllEEvT3_S1_T2_PKT1_PKS2_PKS1_S9_21rocsparse_index_base_22rocsparse_matrix_type_20rocsparse_fill_mode_23rocsparse_storage_mode_P22rocsparse_data_status_.uses_flat_scratch, 0
	.set _ZN9rocsparseL23check_matrix_csr_deviceILj256ELj128EdllEEvT3_S1_T2_PKT1_PKS2_PKS1_S9_21rocsparse_index_base_22rocsparse_matrix_type_20rocsparse_fill_mode_23rocsparse_storage_mode_P22rocsparse_data_status_.has_dyn_sized_stack, 0
	.set _ZN9rocsparseL23check_matrix_csr_deviceILj256ELj128EdllEEvT3_S1_T2_PKT1_PKS2_PKS1_S9_21rocsparse_index_base_22rocsparse_matrix_type_20rocsparse_fill_mode_23rocsparse_storage_mode_P22rocsparse_data_status_.has_recursion, 0
	.set _ZN9rocsparseL23check_matrix_csr_deviceILj256ELj128EdllEEvT3_S1_T2_PKT1_PKS2_PKS1_S9_21rocsparse_index_base_22rocsparse_matrix_type_20rocsparse_fill_mode_23rocsparse_storage_mode_P22rocsparse_data_status_.has_indirect_call, 0
	.section	.AMDGPU.csdata,"",@progbits
; Kernel info:
; codeLenInByte = 1052
; TotalNumSgprs: 27
; NumVgprs: 24
; ScratchSize: 0
; MemoryBound: 0
; FloatMode: 240
; IeeeMode: 1
; LDSByteSize: 0 bytes/workgroup (compile time only)
; SGPRBlocks: 0
; VGPRBlocks: 1
; NumSGPRsForWavesPerEU: 27
; NumVGPRsForWavesPerEU: 24
; NamedBarCnt: 0
; Occupancy: 16
; WaveLimiterHint : 0
; COMPUTE_PGM_RSRC2:SCRATCH_EN: 0
; COMPUTE_PGM_RSRC2:USER_SGPR: 2
; COMPUTE_PGM_RSRC2:TRAP_HANDLER: 0
; COMPUTE_PGM_RSRC2:TGID_X_EN: 1
; COMPUTE_PGM_RSRC2:TGID_Y_EN: 0
; COMPUTE_PGM_RSRC2:TGID_Z_EN: 0
; COMPUTE_PGM_RSRC2:TIDIG_COMP_CNT: 0
	.section	.text._ZN9rocsparseL23check_matrix_csr_deviceILj256ELj256EdllEEvT3_S1_T2_PKT1_PKS2_PKS1_S9_21rocsparse_index_base_22rocsparse_matrix_type_20rocsparse_fill_mode_23rocsparse_storage_mode_P22rocsparse_data_status_,"axG",@progbits,_ZN9rocsparseL23check_matrix_csr_deviceILj256ELj256EdllEEvT3_S1_T2_PKT1_PKS2_PKS1_S9_21rocsparse_index_base_22rocsparse_matrix_type_20rocsparse_fill_mode_23rocsparse_storage_mode_P22rocsparse_data_status_,comdat
	.globl	_ZN9rocsparseL23check_matrix_csr_deviceILj256ELj256EdllEEvT3_S1_T2_PKT1_PKS2_PKS1_S9_21rocsparse_index_base_22rocsparse_matrix_type_20rocsparse_fill_mode_23rocsparse_storage_mode_P22rocsparse_data_status_ ; -- Begin function _ZN9rocsparseL23check_matrix_csr_deviceILj256ELj256EdllEEvT3_S1_T2_PKT1_PKS2_PKS1_S9_21rocsparse_index_base_22rocsparse_matrix_type_20rocsparse_fill_mode_23rocsparse_storage_mode_P22rocsparse_data_status_
	.p2align	8
	.type	_ZN9rocsparseL23check_matrix_csr_deviceILj256ELj256EdllEEvT3_S1_T2_PKT1_PKS2_PKS1_S9_21rocsparse_index_base_22rocsparse_matrix_type_20rocsparse_fill_mode_23rocsparse_storage_mode_P22rocsparse_data_status_,@function
_ZN9rocsparseL23check_matrix_csr_deviceILj256ELj256EdllEEvT3_S1_T2_PKT1_PKS2_PKS1_S9_21rocsparse_index_base_22rocsparse_matrix_type_20rocsparse_fill_mode_23rocsparse_storage_mode_P22rocsparse_data_status_: ; @_ZN9rocsparseL23check_matrix_csr_deviceILj256ELj256EdllEEvT3_S1_T2_PKT1_PKS2_PKS1_S9_21rocsparse_index_base_22rocsparse_matrix_type_20rocsparse_fill_mode_23rocsparse_storage_mode_P22rocsparse_data_status_
; %bb.0:
	s_load_b128 s[4:7], s[0:1], 0x0
	s_bfe_u32 s2, ttmp6, 0x4000c
	s_and_b32 s3, ttmp6, 15
	s_add_co_i32 s2, s2, 1
	s_getreg_b32 s8, hwreg(HW_REG_IB_STS2, 6, 4)
	s_mul_i32 s2, ttmp9, s2
	s_mov_b32 s9, 0
	s_add_co_i32 s3, s3, s2
	s_cmp_eq_u32 s8, 0
	s_cselect_b32 s2, ttmp9, s3
	s_mov_b32 s3, exec_lo
	s_and_b32 s8, s2, 0xffffff
	s_wait_kmcnt 0x0
	v_cmpx_gt_i64_e64 s[4:5], s[8:9]
	s_cbranch_execz .LBB75_31
; %bb.1:
	s_load_b64 s[2:3], s[0:1], 0x20
	v_mov_b64_e32 v[2:3], s[8:9]
	s_delay_alu instid0(VALU_DEP_1)
	v_dual_mov_b32 v18, 3 :: v_dual_lshlrev_b32 v1, 3, v2
	s_wait_kmcnt 0x0
	global_load_b128 v[6:9], v1, s[2:3]
	s_wait_xcnt 0x0
	s_load_b64 s[2:3], s[2:3], 0x0
	s_wait_loadcnt 0x0
	s_wait_kmcnt 0x0
	v_sub_nc_u64_e64 v[2:3], v[8:9], s[2:3]
	v_sub_nc_u64_e64 v[4:5], v[6:7], s[2:3]
	v_cmp_lt_i64_e64 s2, v[8:9], v[6:7]
	s_delay_alu instid0(VALU_DEP_3) | instskip(NEXT) | instid1(VALU_DEP_3)
	v_cmp_gt_i64_e32 vcc_lo, 0, v[2:3]
	v_cmp_lt_i64_e64 s3, -1, v[4:5]
	s_or_b32 s2, vcc_lo, s2
	s_delay_alu instid0(SALU_CYCLE_1) | instskip(SKIP_2) | instid1(SALU_CYCLE_1)
	s_xor_b32 s4, s2, -1
	s_mov_b32 s2, -1
	s_and_b32 s3, s3, s4
	s_and_saveexec_b32 s10, s3
	s_cbranch_execz .LBB75_29
; %bb.2:
	v_dual_mov_b32 v1, 0 :: v_dual_mov_b32 v18, 3
	s_mov_b32 s2, 0
	s_mov_b32 s11, exec_lo
	s_delay_alu instid0(VALU_DEP_1) | instskip(NEXT) | instid1(VALU_DEP_1)
	v_add_nc_u64_e32 v[0:1], v[4:5], v[0:1]
	v_cmpx_lt_u64_e64 v[0:1], v[2:3]
	s_cbranch_execz .LBB75_28
; %bb.3:
	s_clause 0x1
	s_load_b256 s[16:23], s[0:1], 0x28
	s_load_b64 s[2:3], s[0:1], 0x18
	v_lshlrev_b64_e32 v[10:11], 3, v[0:1]
	s_mov_b32 s5, 0
	s_delay_alu instid0(SALU_CYCLE_1) | instskip(SKIP_1) | instid1(VALU_DEP_1)
	s_mov_b32 s15, s5
	s_wait_kmcnt 0x0
	v_add_nc_u64_e32 v[8:9], s[18:19], v[10:11]
	s_cmp_lg_u32 s21, 0
	v_add_nc_u64_e32 v[6:7], s[2:3], v[10:11]
	v_add_nc_u64_e32 v[10:11], s[16:17], v[10:11]
	s_cselect_b32 s12, -1, 0
	s_cmp_lg_u32 s22, 0
	s_mov_b32 s4, s20
	v_add_nc_u64_e32 v[8:9], -8, v[8:9]
	s_cselect_b32 s13, -1, 0
	s_cmp_lg_u32 s23, 0
                                        ; implicit-def: $sgpr16
                                        ; implicit-def: $sgpr17
                                        ; implicit-def: $sgpr18
	s_cselect_b32 s14, -1, 0
	s_branch .LBB75_10
.LBB75_4:                               ;   in Loop: Header=BB75_10 Depth=1
	s_or_b32 exec_lo, exec_lo, s3
	s_delay_alu instid0(SALU_CYCLE_1)
	s_or_not1_b32 s26, s2, exec_lo
	s_or_not1_b32 s2, s23, exec_lo
.LBB75_5:                               ;   in Loop: Header=BB75_10 Depth=1
	s_or_b32 exec_lo, exec_lo, s24
	s_delay_alu instid0(SALU_CYCLE_1)
	s_or_not1_b32 s3, s26, exec_lo
	s_or_not1_b32 s2, s2, exec_lo
.LBB75_6:                               ;   in Loop: Header=BB75_10 Depth=1
	s_or_b32 exec_lo, exec_lo, s22
	s_delay_alu instid0(SALU_CYCLE_1)
	s_or_not1_b32 s3, s3, exec_lo
	s_or_not1_b32 s2, s2, exec_lo
.LBB75_7:                               ;   in Loop: Header=BB75_10 Depth=1
	s_or_b32 exec_lo, exec_lo, s21
	s_delay_alu instid0(SALU_CYCLE_1)
	s_or_not1_b32 s3, s3, exec_lo
	s_or_not1_b32 s2, s2, exec_lo
.LBB75_8:                               ;   in Loop: Header=BB75_10 Depth=1
	s_or_b32 exec_lo, exec_lo, s20
	s_delay_alu instid0(SALU_CYCLE_1)
	s_and_not1_b32 s18, s18, exec_lo
	s_and_b32 s3, s3, exec_lo
	s_and_not1_b32 s17, s17, exec_lo
	s_and_b32 s2, s2, exec_lo
	s_or_b32 s18, s18, s3
	s_or_b32 s17, s17, s2
.LBB75_9:                               ;   in Loop: Header=BB75_10 Depth=1
	s_or_b32 exec_lo, exec_lo, s19
	s_delay_alu instid0(SALU_CYCLE_1) | instskip(NEXT) | instid1(SALU_CYCLE_1)
	s_and_b32 s2, exec_lo, s17
	s_or_b32 s15, s2, s15
	s_and_not1_b32 s2, s16, exec_lo
	s_and_b32 s3, s18, exec_lo
	s_delay_alu instid0(SALU_CYCLE_1)
	s_or_b32 s16, s2, s3
	s_and_not1_b32 exec_lo, exec_lo, s15
	s_cbranch_execz .LBB75_27
.LBB75_10:                              ; =>This Inner Loop Header: Depth=1
	global_load_b64 v[12:13], v[10:11], off
	v_mov_b32_e32 v18, 4
	s_or_b32 s18, s18, exec_lo
	s_or_b32 s17, s17, exec_lo
	s_wait_loadcnt 0x0
	v_sub_nc_u64_e64 v[14:15], v[12:13], s[4:5]
	s_delay_alu instid0(VALU_DEP_1) | instskip(SKIP_2) | instid1(SALU_CYCLE_1)
	v_cmp_lt_i64_e32 vcc_lo, -1, v[14:15]
	v_cmp_gt_i64_e64 s2, s[6:7], v[14:15]
	s_and_b32 s2, vcc_lo, s2
	s_and_saveexec_b32 s19, s2
	s_cbranch_execz .LBB75_9
; %bb.11:                               ;   in Loop: Header=BB75_10 Depth=1
	v_cmp_le_i64_e64 s23, v[0:1], v[4:5]
	v_mov_b32_e32 v18, 4
	s_mov_b32 s20, exec_lo
	s_mov_b32 s21, s23
	v_cmpx_gt_i64_e64 v[0:1], v[4:5]
	s_cbranch_execz .LBB75_13
; %bb.12:                               ;   in Loop: Header=BB75_10 Depth=1
	global_load_b128 v[16:19], v[8:9], off
	s_wait_loadcnt 0x0
	v_sub_nc_u64_e64 v[20:21], v[16:17], s[4:5]
	v_cmp_ne_u64_e64 s3, v[18:19], v[16:17]
	v_mov_b32_e32 v18, 5
	s_delay_alu instid0(VALU_DEP_3) | instskip(SKIP_2) | instid1(SALU_CYCLE_1)
	v_cmp_lt_i64_e32 vcc_lo, -1, v[20:21]
	v_cmp_gt_i64_e64 s2, s[6:7], v[20:21]
	s_and_b32 s2, vcc_lo, s2
	s_xor_b32 s2, s2, -1
	s_delay_alu instid0(SALU_CYCLE_1) | instskip(SKIP_2) | instid1(SALU_CYCLE_1)
	s_or_b32 s2, s3, s2
	s_and_not1_b32 s3, s23, exec_lo
	s_and_b32 s2, s2, exec_lo
	s_or_b32 s21, s3, s2
.LBB75_13:                              ;   in Loop: Header=BB75_10 Depth=1
	s_or_b32 exec_lo, exec_lo, s20
	s_mov_b32 s2, -1
	s_mov_b32 s3, -1
	s_and_saveexec_b32 s20, s21
	s_cbranch_execz .LBB75_8
; %bb.14:                               ;   in Loop: Header=BB75_10 Depth=1
	global_load_b64 v[16:17], v[6:7], off
	v_mov_b32_e32 v18, 1
	s_mov_b32 s21, exec_lo
	s_wait_loadcnt 0x0
	v_cmpx_neq_f64_e32 0x7ff00000, v[16:17]
	s_cbranch_execz .LBB75_7
; %bb.15:                               ;   in Loop: Header=BB75_10 Depth=1
	v_mov_b32_e32 v18, 2
	s_mov_b32 s22, exec_lo
	v_cmpx_o_f64_e32 v[16:17], v[16:17]
	s_cbranch_execz .LBB75_6
; %bb.16:                               ;   in Loop: Header=BB75_10 Depth=1
	s_and_b32 vcc_lo, exec_lo, s12
	s_cbranch_vccz .LBB75_19
; %bb.17:                               ;   in Loop: Header=BB75_10 Depth=1
	s_and_b32 vcc_lo, exec_lo, s13
	s_cbranch_vccz .LBB75_20
; %bb.18:                               ;   in Loop: Header=BB75_10 Depth=1
	v_cmp_le_i64_e32 vcc_lo, s[8:9], v[14:15]
	s_mov_b32 s3, 7
	s_and_b32 s25, vcc_lo, exec_lo
	s_cbranch_execz .LBB75_21
	s_branch .LBB75_22
.LBB75_19:                              ;   in Loop: Header=BB75_10 Depth=1
	s_mov_b32 s3, 2
	s_mov_b32 s25, -1
	s_branch .LBB75_22
.LBB75_20:                              ;   in Loop: Header=BB75_10 Depth=1
	s_mov_b32 s25, 0
	s_mov_b32 s3, 2
.LBB75_21:                              ;   in Loop: Header=BB75_10 Depth=1
	v_cmp_ge_i64_e32 vcc_lo, s[8:9], v[14:15]
	s_and_not1_b32 s24, s25, exec_lo
	s_mov_b32 s3, 7
	s_and_b32 s25, vcc_lo, exec_lo
	s_delay_alu instid0(SALU_CYCLE_1)
	s_or_b32 s25, s24, s25
.LBB75_22:                              ;   in Loop: Header=BB75_10 Depth=1
	v_mov_b32_e32 v18, s3
	s_mov_b32 s26, -1
	s_and_saveexec_b32 s24, s25
	s_cbranch_execz .LBB75_5
; %bb.23:                               ;   in Loop: Header=BB75_10 Depth=1
	v_mov_b32_e32 v18, s3
	s_nor_b32 s2, s14, s23
	s_mov_b32 s23, -1
	s_and_saveexec_b32 s25, s2
	s_cbranch_execz .LBB75_25
; %bb.24:                               ;   in Loop: Header=BB75_10 Depth=1
	global_load_b64 v[14:15], v[10:11], off offset:-8
	v_mov_b32_e32 v18, 6
	s_wait_loadcnt 0x0
	v_sub_nc_u64_e64 v[16:17], v[14:15], s[4:5]
	v_cmp_gt_i64_e64 s3, v[12:13], v[14:15]
	s_delay_alu instid0(VALU_DEP_2) | instskip(SKIP_2) | instid1(SALU_CYCLE_1)
	v_cmp_lt_i64_e32 vcc_lo, -1, v[16:17]
	v_cmp_gt_i64_e64 s2, s[6:7], v[16:17]
	s_and_b32 s2, vcc_lo, s2
	s_xor_b32 s2, s2, -1
	s_delay_alu instid0(SALU_CYCLE_1) | instskip(NEXT) | instid1(SALU_CYCLE_1)
	s_or_b32 s2, s3, s2
	s_or_not1_b32 s26, s2, exec_lo
.LBB75_25:                              ;   in Loop: Header=BB75_10 Depth=1
	s_or_b32 exec_lo, exec_lo, s25
	s_mov_b32 s2, -1
	s_and_saveexec_b32 s3, s26
	s_cbranch_execz .LBB75_4
; %bb.26:                               ;   in Loop: Header=BB75_10 Depth=1
	v_add_nc_u64_e32 v[0:1], 0x100, v[0:1]
	v_add_nc_u64_e32 v[8:9], 0x800, v[8:9]
	;; [unrolled: 1-line block ×4, first 2 shown]
	s_xor_b32 s2, exec_lo, -1
	s_delay_alu instid0(VALU_DEP_4)
	v_cmp_ge_i64_e32 vcc_lo, v[0:1], v[2:3]
	s_or_not1_b32 s23, vcc_lo, exec_lo
	s_branch .LBB75_4
.LBB75_27:
	s_or_b32 exec_lo, exec_lo, s15
	s_delay_alu instid0(SALU_CYCLE_1)
	s_and_b32 s2, s16, exec_lo
.LBB75_28:
	s_or_b32 exec_lo, exec_lo, s11
	s_delay_alu instid0(SALU_CYCLE_1)
	s_or_not1_b32 s2, s2, exec_lo
.LBB75_29:
	s_or_b32 exec_lo, exec_lo, s10
	s_delay_alu instid0(SALU_CYCLE_1)
	s_and_b32 exec_lo, exec_lo, s2
	s_cbranch_execz .LBB75_31
; %bb.30:
	s_load_b64 s[0:1], s[0:1], 0x48
	v_mov_b32_e32 v0, 0
	s_wait_kmcnt 0x0
	global_store_b32 v0, v18, s[0:1]
.LBB75_31:
	s_endpgm
	.section	.rodata,"a",@progbits
	.p2align	6, 0x0
	.amdhsa_kernel _ZN9rocsparseL23check_matrix_csr_deviceILj256ELj256EdllEEvT3_S1_T2_PKT1_PKS2_PKS1_S9_21rocsparse_index_base_22rocsparse_matrix_type_20rocsparse_fill_mode_23rocsparse_storage_mode_P22rocsparse_data_status_
		.amdhsa_group_segment_fixed_size 0
		.amdhsa_private_segment_fixed_size 0
		.amdhsa_kernarg_size 80
		.amdhsa_user_sgpr_count 2
		.amdhsa_user_sgpr_dispatch_ptr 0
		.amdhsa_user_sgpr_queue_ptr 0
		.amdhsa_user_sgpr_kernarg_segment_ptr 1
		.amdhsa_user_sgpr_dispatch_id 0
		.amdhsa_user_sgpr_kernarg_preload_length 0
		.amdhsa_user_sgpr_kernarg_preload_offset 0
		.amdhsa_user_sgpr_private_segment_size 0
		.amdhsa_wavefront_size32 1
		.amdhsa_uses_dynamic_stack 0
		.amdhsa_enable_private_segment 0
		.amdhsa_system_sgpr_workgroup_id_x 1
		.amdhsa_system_sgpr_workgroup_id_y 0
		.amdhsa_system_sgpr_workgroup_id_z 0
		.amdhsa_system_sgpr_workgroup_info 0
		.amdhsa_system_vgpr_workitem_id 0
		.amdhsa_next_free_vgpr 22
		.amdhsa_next_free_sgpr 27
		.amdhsa_named_barrier_count 0
		.amdhsa_reserve_vcc 1
		.amdhsa_float_round_mode_32 0
		.amdhsa_float_round_mode_16_64 0
		.amdhsa_float_denorm_mode_32 3
		.amdhsa_float_denorm_mode_16_64 3
		.amdhsa_fp16_overflow 0
		.amdhsa_memory_ordered 1
		.amdhsa_forward_progress 1
		.amdhsa_inst_pref_size 9
		.amdhsa_round_robin_scheduling 0
		.amdhsa_exception_fp_ieee_invalid_op 0
		.amdhsa_exception_fp_denorm_src 0
		.amdhsa_exception_fp_ieee_div_zero 0
		.amdhsa_exception_fp_ieee_overflow 0
		.amdhsa_exception_fp_ieee_underflow 0
		.amdhsa_exception_fp_ieee_inexact 0
		.amdhsa_exception_int_div_zero 0
	.end_amdhsa_kernel
	.section	.text._ZN9rocsparseL23check_matrix_csr_deviceILj256ELj256EdllEEvT3_S1_T2_PKT1_PKS2_PKS1_S9_21rocsparse_index_base_22rocsparse_matrix_type_20rocsparse_fill_mode_23rocsparse_storage_mode_P22rocsparse_data_status_,"axG",@progbits,_ZN9rocsparseL23check_matrix_csr_deviceILj256ELj256EdllEEvT3_S1_T2_PKT1_PKS2_PKS1_S9_21rocsparse_index_base_22rocsparse_matrix_type_20rocsparse_fill_mode_23rocsparse_storage_mode_P22rocsparse_data_status_,comdat
.Lfunc_end75:
	.size	_ZN9rocsparseL23check_matrix_csr_deviceILj256ELj256EdllEEvT3_S1_T2_PKT1_PKS2_PKS1_S9_21rocsparse_index_base_22rocsparse_matrix_type_20rocsparse_fill_mode_23rocsparse_storage_mode_P22rocsparse_data_status_, .Lfunc_end75-_ZN9rocsparseL23check_matrix_csr_deviceILj256ELj256EdllEEvT3_S1_T2_PKT1_PKS2_PKS1_S9_21rocsparse_index_base_22rocsparse_matrix_type_20rocsparse_fill_mode_23rocsparse_storage_mode_P22rocsparse_data_status_
                                        ; -- End function
	.set _ZN9rocsparseL23check_matrix_csr_deviceILj256ELj256EdllEEvT3_S1_T2_PKT1_PKS2_PKS1_S9_21rocsparse_index_base_22rocsparse_matrix_type_20rocsparse_fill_mode_23rocsparse_storage_mode_P22rocsparse_data_status_.num_vgpr, 22
	.set _ZN9rocsparseL23check_matrix_csr_deviceILj256ELj256EdllEEvT3_S1_T2_PKT1_PKS2_PKS1_S9_21rocsparse_index_base_22rocsparse_matrix_type_20rocsparse_fill_mode_23rocsparse_storage_mode_P22rocsparse_data_status_.num_agpr, 0
	.set _ZN9rocsparseL23check_matrix_csr_deviceILj256ELj256EdllEEvT3_S1_T2_PKT1_PKS2_PKS1_S9_21rocsparse_index_base_22rocsparse_matrix_type_20rocsparse_fill_mode_23rocsparse_storage_mode_P22rocsparse_data_status_.numbered_sgpr, 27
	.set _ZN9rocsparseL23check_matrix_csr_deviceILj256ELj256EdllEEvT3_S1_T2_PKT1_PKS2_PKS1_S9_21rocsparse_index_base_22rocsparse_matrix_type_20rocsparse_fill_mode_23rocsparse_storage_mode_P22rocsparse_data_status_.num_named_barrier, 0
	.set _ZN9rocsparseL23check_matrix_csr_deviceILj256ELj256EdllEEvT3_S1_T2_PKT1_PKS2_PKS1_S9_21rocsparse_index_base_22rocsparse_matrix_type_20rocsparse_fill_mode_23rocsparse_storage_mode_P22rocsparse_data_status_.private_seg_size, 0
	.set _ZN9rocsparseL23check_matrix_csr_deviceILj256ELj256EdllEEvT3_S1_T2_PKT1_PKS2_PKS1_S9_21rocsparse_index_base_22rocsparse_matrix_type_20rocsparse_fill_mode_23rocsparse_storage_mode_P22rocsparse_data_status_.uses_vcc, 1
	.set _ZN9rocsparseL23check_matrix_csr_deviceILj256ELj256EdllEEvT3_S1_T2_PKT1_PKS2_PKS1_S9_21rocsparse_index_base_22rocsparse_matrix_type_20rocsparse_fill_mode_23rocsparse_storage_mode_P22rocsparse_data_status_.uses_flat_scratch, 0
	.set _ZN9rocsparseL23check_matrix_csr_deviceILj256ELj256EdllEEvT3_S1_T2_PKT1_PKS2_PKS1_S9_21rocsparse_index_base_22rocsparse_matrix_type_20rocsparse_fill_mode_23rocsparse_storage_mode_P22rocsparse_data_status_.has_dyn_sized_stack, 0
	.set _ZN9rocsparseL23check_matrix_csr_deviceILj256ELj256EdllEEvT3_S1_T2_PKT1_PKS2_PKS1_S9_21rocsparse_index_base_22rocsparse_matrix_type_20rocsparse_fill_mode_23rocsparse_storage_mode_P22rocsparse_data_status_.has_recursion, 0
	.set _ZN9rocsparseL23check_matrix_csr_deviceILj256ELj256EdllEEvT3_S1_T2_PKT1_PKS2_PKS1_S9_21rocsparse_index_base_22rocsparse_matrix_type_20rocsparse_fill_mode_23rocsparse_storage_mode_P22rocsparse_data_status_.has_indirect_call, 0
	.section	.AMDGPU.csdata,"",@progbits
; Kernel info:
; codeLenInByte = 1040
; TotalNumSgprs: 29
; NumVgprs: 22
; ScratchSize: 0
; MemoryBound: 0
; FloatMode: 240
; IeeeMode: 1
; LDSByteSize: 0 bytes/workgroup (compile time only)
; SGPRBlocks: 0
; VGPRBlocks: 1
; NumSGPRsForWavesPerEU: 29
; NumVGPRsForWavesPerEU: 22
; NamedBarCnt: 0
; Occupancy: 16
; WaveLimiterHint : 0
; COMPUTE_PGM_RSRC2:SCRATCH_EN: 0
; COMPUTE_PGM_RSRC2:USER_SGPR: 2
; COMPUTE_PGM_RSRC2:TRAP_HANDLER: 0
; COMPUTE_PGM_RSRC2:TGID_X_EN: 1
; COMPUTE_PGM_RSRC2:TGID_Y_EN: 0
; COMPUTE_PGM_RSRC2:TGID_Z_EN: 0
; COMPUTE_PGM_RSRC2:TIDIG_COMP_CNT: 0
	.section	.text._ZN9rocsparseL23check_matrix_csr_deviceILj256ELj4E21rocsparse_complex_numIfEllEEvT3_S3_T2_PKT1_PKS4_PKS3_SB_21rocsparse_index_base_22rocsparse_matrix_type_20rocsparse_fill_mode_23rocsparse_storage_mode_P22rocsparse_data_status_,"axG",@progbits,_ZN9rocsparseL23check_matrix_csr_deviceILj256ELj4E21rocsparse_complex_numIfEllEEvT3_S3_T2_PKT1_PKS4_PKS3_SB_21rocsparse_index_base_22rocsparse_matrix_type_20rocsparse_fill_mode_23rocsparse_storage_mode_P22rocsparse_data_status_,comdat
	.globl	_ZN9rocsparseL23check_matrix_csr_deviceILj256ELj4E21rocsparse_complex_numIfEllEEvT3_S3_T2_PKT1_PKS4_PKS3_SB_21rocsparse_index_base_22rocsparse_matrix_type_20rocsparse_fill_mode_23rocsparse_storage_mode_P22rocsparse_data_status_ ; -- Begin function _ZN9rocsparseL23check_matrix_csr_deviceILj256ELj4E21rocsparse_complex_numIfEllEEvT3_S3_T2_PKT1_PKS4_PKS3_SB_21rocsparse_index_base_22rocsparse_matrix_type_20rocsparse_fill_mode_23rocsparse_storage_mode_P22rocsparse_data_status_
	.p2align	8
	.type	_ZN9rocsparseL23check_matrix_csr_deviceILj256ELj4E21rocsparse_complex_numIfEllEEvT3_S3_T2_PKT1_PKS4_PKS3_SB_21rocsparse_index_base_22rocsparse_matrix_type_20rocsparse_fill_mode_23rocsparse_storage_mode_P22rocsparse_data_status_,@function
_ZN9rocsparseL23check_matrix_csr_deviceILj256ELj4E21rocsparse_complex_numIfEllEEvT3_S3_T2_PKT1_PKS4_PKS3_SB_21rocsparse_index_base_22rocsparse_matrix_type_20rocsparse_fill_mode_23rocsparse_storage_mode_P22rocsparse_data_status_: ; @_ZN9rocsparseL23check_matrix_csr_deviceILj256ELj4E21rocsparse_complex_numIfEllEEvT3_S3_T2_PKT1_PKS4_PKS3_SB_21rocsparse_index_base_22rocsparse_matrix_type_20rocsparse_fill_mode_23rocsparse_storage_mode_P22rocsparse_data_status_
; %bb.0:
	s_bfe_u32 s2, ttmp6, 0x4000c
	s_load_b128 s[4:7], s[0:1], 0x0
	s_add_co_i32 s2, s2, 1
	s_and_b32 s3, ttmp6, 15
	s_mul_i32 s2, ttmp9, s2
	s_getreg_b32 s8, hwreg(HW_REG_IB_STS2, 6, 4)
	s_add_co_i32 s3, s3, s2
	s_cmp_eq_u32 s8, 0
	v_mov_b32_e32 v3, 0
	s_cselect_b32 s2, ttmp9, s3
	s_delay_alu instid0(SALU_CYCLE_1) | instskip(SKIP_1) | instid1(VALU_DEP_1)
	v_lshl_or_b32 v1, s2, 8, v0
	s_mov_b32 s2, exec_lo
	v_lshrrev_b32_e32 v2, 2, v1
	s_wait_kmcnt 0x0
	s_delay_alu instid0(VALU_DEP_1)
	v_cmpx_gt_i64_e64 s[4:5], v[2:3]
	s_cbranch_execz .LBB76_31
; %bb.1:
	s_load_b64 s[2:3], s[0:1], 0x20
	v_mov_b32_e32 v20, 3
	s_wait_kmcnt 0x0
	v_lshl_add_u64 v[4:5], v[2:3], 3, s[2:3]
	s_load_b64 s[2:3], s[2:3], 0x0
	global_load_b128 v[8:11], v[4:5], off
	s_wait_loadcnt 0x0
	s_wait_kmcnt 0x0
	v_sub_nc_u64_e64 v[4:5], v[10:11], s[2:3]
	v_sub_nc_u64_e64 v[6:7], v[8:9], s[2:3]
	v_cmp_lt_i64_e64 s2, v[10:11], v[8:9]
	s_delay_alu instid0(VALU_DEP_3) | instskip(NEXT) | instid1(VALU_DEP_3)
	v_cmp_gt_i64_e32 vcc_lo, 0, v[4:5]
	v_cmp_lt_i64_e64 s3, -1, v[6:7]
	s_or_b32 s2, vcc_lo, s2
	s_delay_alu instid0(SALU_CYCLE_1) | instskip(SKIP_2) | instid1(SALU_CYCLE_1)
	s_xor_b32 s4, s2, -1
	s_mov_b32 s2, -1
	s_and_b32 s3, s3, s4
	s_and_saveexec_b32 s8, s3
	s_cbranch_execz .LBB76_29
; %bb.2:
	v_dual_mov_b32 v1, 0 :: v_dual_bitop2_b32 v0, 3, v0 bitop3:0x40
	v_mov_b32_e32 v20, 3
	s_mov_b32 s2, 0
	s_mov_b32 s9, exec_lo
	s_delay_alu instid0(VALU_DEP_2) | instskip(NEXT) | instid1(VALU_DEP_1)
	v_add_nc_u64_e32 v[0:1], v[6:7], v[0:1]
	v_cmpx_lt_u64_e64 v[0:1], v[4:5]
	s_cbranch_execz .LBB76_28
; %bb.3:
	s_clause 0x1
	s_load_b64 s[2:3], s[0:1], 0x18
	s_load_b256 s[12:19], s[0:1], 0x28
	v_lshlrev_b64_e32 v[8:9], 3, v[0:1]
	s_mov_b32 s5, 0
	s_delay_alu instid0(VALU_DEP_1) | instskip(SKIP_3) | instid1(VALU_DEP_2)
	v_add_nc_u64_e32 v[10:11], -8, v[8:9]
	s_wait_kmcnt 0x0
	v_add_nc_u64_e32 v[12:13], s[2:3], v[8:9]
	s_cmp_lg_u32 s17, 0
	v_add_nc_u64_e32 v[8:9], s[14:15], v[10:11]
	v_add_nc_u64_e32 v[10:11], s[12:13], v[10:11]
	s_cselect_b32 s10, -1, 0
	s_cmp_lg_u32 s18, 0
	s_mov_b32 s4, s16
	v_add_nc_u64_e32 v[12:13], 4, v[12:13]
	s_cselect_b32 s11, -1, 0
	s_cmp_lg_u32 s19, 0
	s_mov_b32 s13, s5
	s_cselect_b32 s12, -1, 0
                                        ; implicit-def: $sgpr14
                                        ; implicit-def: $sgpr15
                                        ; implicit-def: $sgpr16
	s_branch .LBB76_10
.LBB76_4:                               ;   in Loop: Header=BB76_10 Depth=1
	s_or_b32 exec_lo, exec_lo, s3
	s_delay_alu instid0(SALU_CYCLE_1)
	s_or_not1_b32 s24, s2, exec_lo
	s_or_not1_b32 s2, s21, exec_lo
.LBB76_5:                               ;   in Loop: Header=BB76_10 Depth=1
	s_or_b32 exec_lo, exec_lo, s22
	s_delay_alu instid0(SALU_CYCLE_1)
	s_or_not1_b32 s3, s24, exec_lo
	s_or_not1_b32 s2, s2, exec_lo
.LBB76_6:                               ;   in Loop: Header=BB76_10 Depth=1
	s_or_b32 exec_lo, exec_lo, s20
	s_delay_alu instid0(SALU_CYCLE_1)
	s_or_not1_b32 s20, s3, exec_lo
	s_or_not1_b32 s3, s2, exec_lo
.LBB76_7:                               ;   in Loop: Header=BB76_10 Depth=1
	s_or_b32 exec_lo, exec_lo, s19
	s_delay_alu instid0(SALU_CYCLE_1)
	s_or_not1_b32 s19, s20, exec_lo
	s_or_not1_b32 s2, s3, exec_lo
.LBB76_8:                               ;   in Loop: Header=BB76_10 Depth=1
	s_or_b32 exec_lo, exec_lo, s18
	s_delay_alu instid0(SALU_CYCLE_1)
	s_and_not1_b32 s3, s16, exec_lo
	s_and_b32 s16, s19, exec_lo
	s_and_not1_b32 s15, s15, exec_lo
	s_and_b32 s2, s2, exec_lo
	s_or_b32 s16, s3, s16
	s_or_b32 s15, s15, s2
.LBB76_9:                               ;   in Loop: Header=BB76_10 Depth=1
	s_or_b32 exec_lo, exec_lo, s17
	s_delay_alu instid0(SALU_CYCLE_1) | instskip(NEXT) | instid1(SALU_CYCLE_1)
	s_and_b32 s2, exec_lo, s15
	s_or_b32 s13, s2, s13
	s_and_not1_b32 s2, s14, exec_lo
	s_and_b32 s3, s16, exec_lo
	s_delay_alu instid0(SALU_CYCLE_1)
	s_or_b32 s14, s2, s3
	s_and_not1_b32 exec_lo, exec_lo, s13
	s_cbranch_execz .LBB76_27
.LBB76_10:                              ; =>This Inner Loop Header: Depth=1
	global_load_b64 v[14:15], v[10:11], off offset:8
	v_mov_b32_e32 v20, 4
	s_or_b32 s16, s16, exec_lo
	s_or_b32 s15, s15, exec_lo
	s_wait_loadcnt 0x0
	v_sub_nc_u64_e64 v[16:17], v[14:15], s[4:5]
	s_delay_alu instid0(VALU_DEP_1) | instskip(SKIP_2) | instid1(SALU_CYCLE_1)
	v_cmp_lt_i64_e32 vcc_lo, -1, v[16:17]
	v_cmp_gt_i64_e64 s2, s[6:7], v[16:17]
	s_and_b32 s2, vcc_lo, s2
	s_and_saveexec_b32 s17, s2
	s_cbranch_execz .LBB76_9
; %bb.11:                               ;   in Loop: Header=BB76_10 Depth=1
	v_cmp_le_i64_e64 s21, v[0:1], v[6:7]
	v_mov_b32_e32 v20, 4
	s_mov_b32 s18, exec_lo
	s_mov_b32 s3, s21
	v_cmpx_gt_i64_e64 v[0:1], v[6:7]
	s_cbranch_execz .LBB76_13
; %bb.12:                               ;   in Loop: Header=BB76_10 Depth=1
	global_load_b128 v[18:21], v[8:9], off
	s_wait_loadcnt 0x0
	v_sub_nc_u64_e64 v[22:23], v[18:19], s[4:5]
	v_cmp_ne_u64_e64 s3, v[20:21], v[18:19]
	v_mov_b32_e32 v20, 5
	s_delay_alu instid0(VALU_DEP_3) | instskip(SKIP_2) | instid1(SALU_CYCLE_1)
	v_cmp_lt_i64_e32 vcc_lo, -1, v[22:23]
	v_cmp_gt_i64_e64 s2, s[6:7], v[22:23]
	s_and_b32 s2, vcc_lo, s2
	s_xor_b32 s2, s2, -1
	s_delay_alu instid0(SALU_CYCLE_1) | instskip(SKIP_2) | instid1(SALU_CYCLE_1)
	s_or_b32 s2, s3, s2
	s_and_not1_b32 s3, s21, exec_lo
	s_and_b32 s2, s2, exec_lo
	s_or_b32 s3, s3, s2
.LBB76_13:                              ;   in Loop: Header=BB76_10 Depth=1
	s_or_b32 exec_lo, exec_lo, s18
	s_mov_b32 s2, -1
	s_mov_b32 s19, -1
	s_and_saveexec_b32 s18, s3
	s_cbranch_execz .LBB76_8
; %bb.14:                               ;   in Loop: Header=BB76_10 Depth=1
	global_load_b64 v[18:19], v[12:13], off offset:-4
	v_mov_b32_e32 v20, 1
	s_mov_b32 s3, -1
	s_mov_b32 s20, -1
	s_wait_loadcnt 0x0
	v_cmp_neq_f32_e32 vcc_lo, 0x7f800000, v18
	v_cmp_neq_f32_e64 s2, 0x7f800000, v19
	s_and_b32 s2, vcc_lo, s2
	s_delay_alu instid0(SALU_CYCLE_1)
	s_and_saveexec_b32 s19, s2
	s_cbranch_execz .LBB76_7
; %bb.15:                               ;   in Loop: Header=BB76_10 Depth=1
	v_mov_b32_e32 v20, 2
	s_mov_b32 s2, -1
	s_mov_b32 s20, exec_lo
	v_cmpx_o_f32_e32 v18, v19
	s_cbranch_execz .LBB76_6
; %bb.16:                               ;   in Loop: Header=BB76_10 Depth=1
	s_and_b32 vcc_lo, exec_lo, s10
	s_cbranch_vccz .LBB76_19
; %bb.17:                               ;   in Loop: Header=BB76_10 Depth=1
	s_and_b32 vcc_lo, exec_lo, s11
	s_cbranch_vccz .LBB76_20
; %bb.18:                               ;   in Loop: Header=BB76_10 Depth=1
	v_cmp_ge_i64_e32 vcc_lo, v[16:17], v[2:3]
	s_mov_b32 s3, 7
	s_and_b32 s23, vcc_lo, exec_lo
	s_cbranch_execz .LBB76_21
	s_branch .LBB76_22
.LBB76_19:                              ;   in Loop: Header=BB76_10 Depth=1
	s_mov_b32 s3, 2
	s_mov_b32 s23, -1
	s_branch .LBB76_22
.LBB76_20:                              ;   in Loop: Header=BB76_10 Depth=1
	s_mov_b32 s23, 0
	s_mov_b32 s3, 2
.LBB76_21:                              ;   in Loop: Header=BB76_10 Depth=1
	v_cmp_le_i64_e32 vcc_lo, v[16:17], v[2:3]
	s_and_not1_b32 s22, s23, exec_lo
	s_mov_b32 s3, 7
	s_and_b32 s23, vcc_lo, exec_lo
	s_delay_alu instid0(SALU_CYCLE_1)
	s_or_b32 s23, s22, s23
.LBB76_22:                              ;   in Loop: Header=BB76_10 Depth=1
	v_mov_b32_e32 v20, s3
	s_mov_b32 s24, -1
	s_and_saveexec_b32 s22, s23
	s_cbranch_execz .LBB76_5
; %bb.23:                               ;   in Loop: Header=BB76_10 Depth=1
	v_mov_b32_e32 v20, s3
	s_nor_b32 s2, s12, s21
	s_mov_b32 s21, -1
	s_and_saveexec_b32 s23, s2
	s_cbranch_execz .LBB76_25
; %bb.24:                               ;   in Loop: Header=BB76_10 Depth=1
	global_load_b64 v[16:17], v[10:11], off
	v_mov_b32_e32 v20, 6
	s_wait_loadcnt 0x0
	v_sub_nc_u64_e64 v[18:19], v[16:17], s[4:5]
	v_cmp_gt_i64_e64 s3, v[14:15], v[16:17]
	s_delay_alu instid0(VALU_DEP_2) | instskip(SKIP_2) | instid1(SALU_CYCLE_1)
	v_cmp_lt_i64_e32 vcc_lo, -1, v[18:19]
	v_cmp_gt_i64_e64 s2, s[6:7], v[18:19]
	s_and_b32 s2, vcc_lo, s2
	s_xor_b32 s2, s2, -1
	s_delay_alu instid0(SALU_CYCLE_1) | instskip(NEXT) | instid1(SALU_CYCLE_1)
	s_or_b32 s2, s3, s2
	s_or_not1_b32 s24, s2, exec_lo
.LBB76_25:                              ;   in Loop: Header=BB76_10 Depth=1
	s_or_b32 exec_lo, exec_lo, s23
	s_mov_b32 s2, -1
	s_and_saveexec_b32 s3, s24
	s_cbranch_execz .LBB76_4
; %bb.26:                               ;   in Loop: Header=BB76_10 Depth=1
	v_add_nc_u64_e32 v[0:1], 4, v[0:1]
	v_add_nc_u64_e32 v[8:9], 32, v[8:9]
	;; [unrolled: 1-line block ×4, first 2 shown]
	s_xor_b32 s2, exec_lo, -1
	s_delay_alu instid0(VALU_DEP_4)
	v_cmp_ge_i64_e32 vcc_lo, v[0:1], v[4:5]
	s_or_not1_b32 s21, vcc_lo, exec_lo
	s_branch .LBB76_4
.LBB76_27:
	s_or_b32 exec_lo, exec_lo, s13
	s_delay_alu instid0(SALU_CYCLE_1)
	s_and_b32 s2, s14, exec_lo
.LBB76_28:
	s_or_b32 exec_lo, exec_lo, s9
	s_delay_alu instid0(SALU_CYCLE_1)
	s_or_not1_b32 s2, s2, exec_lo
.LBB76_29:
	s_or_b32 exec_lo, exec_lo, s8
	s_delay_alu instid0(SALU_CYCLE_1)
	s_and_b32 exec_lo, exec_lo, s2
	s_cbranch_execz .LBB76_31
; %bb.30:
	s_load_b64 s[0:1], s[0:1], 0x48
	v_mov_b32_e32 v0, 0
	s_wait_kmcnt 0x0
	global_store_b32 v0, v20, s[0:1]
.LBB76_31:
	s_endpgm
	.section	.rodata,"a",@progbits
	.p2align	6, 0x0
	.amdhsa_kernel _ZN9rocsparseL23check_matrix_csr_deviceILj256ELj4E21rocsparse_complex_numIfEllEEvT3_S3_T2_PKT1_PKS4_PKS3_SB_21rocsparse_index_base_22rocsparse_matrix_type_20rocsparse_fill_mode_23rocsparse_storage_mode_P22rocsparse_data_status_
		.amdhsa_group_segment_fixed_size 0
		.amdhsa_private_segment_fixed_size 0
		.amdhsa_kernarg_size 80
		.amdhsa_user_sgpr_count 2
		.amdhsa_user_sgpr_dispatch_ptr 0
		.amdhsa_user_sgpr_queue_ptr 0
		.amdhsa_user_sgpr_kernarg_segment_ptr 1
		.amdhsa_user_sgpr_dispatch_id 0
		.amdhsa_user_sgpr_kernarg_preload_length 0
		.amdhsa_user_sgpr_kernarg_preload_offset 0
		.amdhsa_user_sgpr_private_segment_size 0
		.amdhsa_wavefront_size32 1
		.amdhsa_uses_dynamic_stack 0
		.amdhsa_enable_private_segment 0
		.amdhsa_system_sgpr_workgroup_id_x 1
		.amdhsa_system_sgpr_workgroup_id_y 0
		.amdhsa_system_sgpr_workgroup_id_z 0
		.amdhsa_system_sgpr_workgroup_info 0
		.amdhsa_system_vgpr_workitem_id 0
		.amdhsa_next_free_vgpr 24
		.amdhsa_next_free_sgpr 25
		.amdhsa_named_barrier_count 0
		.amdhsa_reserve_vcc 1
		.amdhsa_float_round_mode_32 0
		.amdhsa_float_round_mode_16_64 0
		.amdhsa_float_denorm_mode_32 3
		.amdhsa_float_denorm_mode_16_64 3
		.amdhsa_fp16_overflow 0
		.amdhsa_memory_ordered 1
		.amdhsa_forward_progress 1
		.amdhsa_inst_pref_size 9
		.amdhsa_round_robin_scheduling 0
		.amdhsa_exception_fp_ieee_invalid_op 0
		.amdhsa_exception_fp_denorm_src 0
		.amdhsa_exception_fp_ieee_div_zero 0
		.amdhsa_exception_fp_ieee_overflow 0
		.amdhsa_exception_fp_ieee_underflow 0
		.amdhsa_exception_fp_ieee_inexact 0
		.amdhsa_exception_int_div_zero 0
	.end_amdhsa_kernel
	.section	.text._ZN9rocsparseL23check_matrix_csr_deviceILj256ELj4E21rocsparse_complex_numIfEllEEvT3_S3_T2_PKT1_PKS4_PKS3_SB_21rocsparse_index_base_22rocsparse_matrix_type_20rocsparse_fill_mode_23rocsparse_storage_mode_P22rocsparse_data_status_,"axG",@progbits,_ZN9rocsparseL23check_matrix_csr_deviceILj256ELj4E21rocsparse_complex_numIfEllEEvT3_S3_T2_PKT1_PKS4_PKS3_SB_21rocsparse_index_base_22rocsparse_matrix_type_20rocsparse_fill_mode_23rocsparse_storage_mode_P22rocsparse_data_status_,comdat
.Lfunc_end76:
	.size	_ZN9rocsparseL23check_matrix_csr_deviceILj256ELj4E21rocsparse_complex_numIfEllEEvT3_S3_T2_PKT1_PKS4_PKS3_SB_21rocsparse_index_base_22rocsparse_matrix_type_20rocsparse_fill_mode_23rocsparse_storage_mode_P22rocsparse_data_status_, .Lfunc_end76-_ZN9rocsparseL23check_matrix_csr_deviceILj256ELj4E21rocsparse_complex_numIfEllEEvT3_S3_T2_PKT1_PKS4_PKS3_SB_21rocsparse_index_base_22rocsparse_matrix_type_20rocsparse_fill_mode_23rocsparse_storage_mode_P22rocsparse_data_status_
                                        ; -- End function
	.set _ZN9rocsparseL23check_matrix_csr_deviceILj256ELj4E21rocsparse_complex_numIfEllEEvT3_S3_T2_PKT1_PKS4_PKS3_SB_21rocsparse_index_base_22rocsparse_matrix_type_20rocsparse_fill_mode_23rocsparse_storage_mode_P22rocsparse_data_status_.num_vgpr, 24
	.set _ZN9rocsparseL23check_matrix_csr_deviceILj256ELj4E21rocsparse_complex_numIfEllEEvT3_S3_T2_PKT1_PKS4_PKS3_SB_21rocsparse_index_base_22rocsparse_matrix_type_20rocsparse_fill_mode_23rocsparse_storage_mode_P22rocsparse_data_status_.num_agpr, 0
	.set _ZN9rocsparseL23check_matrix_csr_deviceILj256ELj4E21rocsparse_complex_numIfEllEEvT3_S3_T2_PKT1_PKS4_PKS3_SB_21rocsparse_index_base_22rocsparse_matrix_type_20rocsparse_fill_mode_23rocsparse_storage_mode_P22rocsparse_data_status_.numbered_sgpr, 25
	.set _ZN9rocsparseL23check_matrix_csr_deviceILj256ELj4E21rocsparse_complex_numIfEllEEvT3_S3_T2_PKT1_PKS4_PKS3_SB_21rocsparse_index_base_22rocsparse_matrix_type_20rocsparse_fill_mode_23rocsparse_storage_mode_P22rocsparse_data_status_.num_named_barrier, 0
	.set _ZN9rocsparseL23check_matrix_csr_deviceILj256ELj4E21rocsparse_complex_numIfEllEEvT3_S3_T2_PKT1_PKS4_PKS3_SB_21rocsparse_index_base_22rocsparse_matrix_type_20rocsparse_fill_mode_23rocsparse_storage_mode_P22rocsparse_data_status_.private_seg_size, 0
	.set _ZN9rocsparseL23check_matrix_csr_deviceILj256ELj4E21rocsparse_complex_numIfEllEEvT3_S3_T2_PKT1_PKS4_PKS3_SB_21rocsparse_index_base_22rocsparse_matrix_type_20rocsparse_fill_mode_23rocsparse_storage_mode_P22rocsparse_data_status_.uses_vcc, 1
	.set _ZN9rocsparseL23check_matrix_csr_deviceILj256ELj4E21rocsparse_complex_numIfEllEEvT3_S3_T2_PKT1_PKS4_PKS3_SB_21rocsparse_index_base_22rocsparse_matrix_type_20rocsparse_fill_mode_23rocsparse_storage_mode_P22rocsparse_data_status_.uses_flat_scratch, 0
	.set _ZN9rocsparseL23check_matrix_csr_deviceILj256ELj4E21rocsparse_complex_numIfEllEEvT3_S3_T2_PKT1_PKS4_PKS3_SB_21rocsparse_index_base_22rocsparse_matrix_type_20rocsparse_fill_mode_23rocsparse_storage_mode_P22rocsparse_data_status_.has_dyn_sized_stack, 0
	.set _ZN9rocsparseL23check_matrix_csr_deviceILj256ELj4E21rocsparse_complex_numIfEllEEvT3_S3_T2_PKT1_PKS4_PKS3_SB_21rocsparse_index_base_22rocsparse_matrix_type_20rocsparse_fill_mode_23rocsparse_storage_mode_P22rocsparse_data_status_.has_recursion, 0
	.set _ZN9rocsparseL23check_matrix_csr_deviceILj256ELj4E21rocsparse_complex_numIfEllEEvT3_S3_T2_PKT1_PKS4_PKS3_SB_21rocsparse_index_base_22rocsparse_matrix_type_20rocsparse_fill_mode_23rocsparse_storage_mode_P22rocsparse_data_status_.has_indirect_call, 0
	.section	.AMDGPU.csdata,"",@progbits
; Kernel info:
; codeLenInByte = 1072
; TotalNumSgprs: 27
; NumVgprs: 24
; ScratchSize: 0
; MemoryBound: 0
; FloatMode: 240
; IeeeMode: 1
; LDSByteSize: 0 bytes/workgroup (compile time only)
; SGPRBlocks: 0
; VGPRBlocks: 1
; NumSGPRsForWavesPerEU: 27
; NumVGPRsForWavesPerEU: 24
; NamedBarCnt: 0
; Occupancy: 16
; WaveLimiterHint : 0
; COMPUTE_PGM_RSRC2:SCRATCH_EN: 0
; COMPUTE_PGM_RSRC2:USER_SGPR: 2
; COMPUTE_PGM_RSRC2:TRAP_HANDLER: 0
; COMPUTE_PGM_RSRC2:TGID_X_EN: 1
; COMPUTE_PGM_RSRC2:TGID_Y_EN: 0
; COMPUTE_PGM_RSRC2:TGID_Z_EN: 0
; COMPUTE_PGM_RSRC2:TIDIG_COMP_CNT: 0
	.section	.text._ZN9rocsparseL23check_matrix_csr_deviceILj256ELj8E21rocsparse_complex_numIfEllEEvT3_S3_T2_PKT1_PKS4_PKS3_SB_21rocsparse_index_base_22rocsparse_matrix_type_20rocsparse_fill_mode_23rocsparse_storage_mode_P22rocsparse_data_status_,"axG",@progbits,_ZN9rocsparseL23check_matrix_csr_deviceILj256ELj8E21rocsparse_complex_numIfEllEEvT3_S3_T2_PKT1_PKS4_PKS3_SB_21rocsparse_index_base_22rocsparse_matrix_type_20rocsparse_fill_mode_23rocsparse_storage_mode_P22rocsparse_data_status_,comdat
	.globl	_ZN9rocsparseL23check_matrix_csr_deviceILj256ELj8E21rocsparse_complex_numIfEllEEvT3_S3_T2_PKT1_PKS4_PKS3_SB_21rocsparse_index_base_22rocsparse_matrix_type_20rocsparse_fill_mode_23rocsparse_storage_mode_P22rocsparse_data_status_ ; -- Begin function _ZN9rocsparseL23check_matrix_csr_deviceILj256ELj8E21rocsparse_complex_numIfEllEEvT3_S3_T2_PKT1_PKS4_PKS3_SB_21rocsparse_index_base_22rocsparse_matrix_type_20rocsparse_fill_mode_23rocsparse_storage_mode_P22rocsparse_data_status_
	.p2align	8
	.type	_ZN9rocsparseL23check_matrix_csr_deviceILj256ELj8E21rocsparse_complex_numIfEllEEvT3_S3_T2_PKT1_PKS4_PKS3_SB_21rocsparse_index_base_22rocsparse_matrix_type_20rocsparse_fill_mode_23rocsparse_storage_mode_P22rocsparse_data_status_,@function
_ZN9rocsparseL23check_matrix_csr_deviceILj256ELj8E21rocsparse_complex_numIfEllEEvT3_S3_T2_PKT1_PKS4_PKS3_SB_21rocsparse_index_base_22rocsparse_matrix_type_20rocsparse_fill_mode_23rocsparse_storage_mode_P22rocsparse_data_status_: ; @_ZN9rocsparseL23check_matrix_csr_deviceILj256ELj8E21rocsparse_complex_numIfEllEEvT3_S3_T2_PKT1_PKS4_PKS3_SB_21rocsparse_index_base_22rocsparse_matrix_type_20rocsparse_fill_mode_23rocsparse_storage_mode_P22rocsparse_data_status_
; %bb.0:
	s_bfe_u32 s2, ttmp6, 0x4000c
	s_load_b128 s[4:7], s[0:1], 0x0
	s_add_co_i32 s2, s2, 1
	s_and_b32 s3, ttmp6, 15
	s_mul_i32 s2, ttmp9, s2
	s_getreg_b32 s8, hwreg(HW_REG_IB_STS2, 6, 4)
	s_add_co_i32 s3, s3, s2
	s_cmp_eq_u32 s8, 0
	v_mov_b32_e32 v3, 0
	s_cselect_b32 s2, ttmp9, s3
	s_delay_alu instid0(SALU_CYCLE_1) | instskip(SKIP_1) | instid1(VALU_DEP_1)
	v_lshl_or_b32 v1, s2, 8, v0
	s_mov_b32 s2, exec_lo
	v_lshrrev_b32_e32 v2, 3, v1
	s_wait_kmcnt 0x0
	s_delay_alu instid0(VALU_DEP_1)
	v_cmpx_gt_i64_e64 s[4:5], v[2:3]
	s_cbranch_execz .LBB77_31
; %bb.1:
	s_load_b64 s[2:3], s[0:1], 0x20
	v_dual_mov_b32 v20, 3 :: v_dual_lshlrev_b32 v1, 3, v2
	s_wait_kmcnt 0x0
	global_load_b128 v[8:11], v1, s[2:3]
	s_wait_xcnt 0x0
	s_load_b64 s[2:3], s[2:3], 0x0
	s_wait_loadcnt 0x0
	s_wait_kmcnt 0x0
	v_sub_nc_u64_e64 v[4:5], v[10:11], s[2:3]
	v_sub_nc_u64_e64 v[6:7], v[8:9], s[2:3]
	v_cmp_lt_i64_e64 s2, v[10:11], v[8:9]
	s_delay_alu instid0(VALU_DEP_3) | instskip(NEXT) | instid1(VALU_DEP_3)
	v_cmp_gt_i64_e32 vcc_lo, 0, v[4:5]
	v_cmp_lt_i64_e64 s3, -1, v[6:7]
	s_or_b32 s2, vcc_lo, s2
	s_delay_alu instid0(SALU_CYCLE_1) | instskip(SKIP_2) | instid1(SALU_CYCLE_1)
	s_xor_b32 s4, s2, -1
	s_mov_b32 s2, -1
	s_and_b32 s3, s3, s4
	s_and_saveexec_b32 s8, s3
	s_cbranch_execz .LBB77_29
; %bb.2:
	v_dual_mov_b32 v1, 0 :: v_dual_bitop2_b32 v0, 7, v0 bitop3:0x40
	v_mov_b32_e32 v20, 3
	s_mov_b32 s2, 0
	s_mov_b32 s9, exec_lo
	s_delay_alu instid0(VALU_DEP_2) | instskip(NEXT) | instid1(VALU_DEP_1)
	v_add_nc_u64_e32 v[0:1], v[6:7], v[0:1]
	v_cmpx_lt_u64_e64 v[0:1], v[4:5]
	s_cbranch_execz .LBB77_28
; %bb.3:
	s_clause 0x1
	s_load_b64 s[2:3], s[0:1], 0x18
	s_load_b256 s[12:19], s[0:1], 0x28
	v_lshlrev_b64_e32 v[8:9], 3, v[0:1]
	s_mov_b32 s5, 0
	s_delay_alu instid0(VALU_DEP_1) | instskip(SKIP_3) | instid1(VALU_DEP_2)
	v_add_nc_u64_e32 v[10:11], -8, v[8:9]
	s_wait_kmcnt 0x0
	v_add_nc_u64_e32 v[12:13], s[2:3], v[8:9]
	s_cmp_lg_u32 s17, 0
	v_add_nc_u64_e32 v[8:9], s[14:15], v[10:11]
	v_add_nc_u64_e32 v[10:11], s[12:13], v[10:11]
	s_cselect_b32 s10, -1, 0
	s_cmp_lg_u32 s18, 0
	s_mov_b32 s4, s16
	v_add_nc_u64_e32 v[12:13], 4, v[12:13]
	s_cselect_b32 s11, -1, 0
	s_cmp_lg_u32 s19, 0
	s_mov_b32 s13, s5
	s_cselect_b32 s12, -1, 0
                                        ; implicit-def: $sgpr14
                                        ; implicit-def: $sgpr15
                                        ; implicit-def: $sgpr16
	s_branch .LBB77_10
.LBB77_4:                               ;   in Loop: Header=BB77_10 Depth=1
	s_or_b32 exec_lo, exec_lo, s3
	s_delay_alu instid0(SALU_CYCLE_1)
	s_or_not1_b32 s24, s2, exec_lo
	s_or_not1_b32 s2, s21, exec_lo
.LBB77_5:                               ;   in Loop: Header=BB77_10 Depth=1
	s_or_b32 exec_lo, exec_lo, s22
	s_delay_alu instid0(SALU_CYCLE_1)
	s_or_not1_b32 s3, s24, exec_lo
	s_or_not1_b32 s2, s2, exec_lo
.LBB77_6:                               ;   in Loop: Header=BB77_10 Depth=1
	s_or_b32 exec_lo, exec_lo, s20
	s_delay_alu instid0(SALU_CYCLE_1)
	s_or_not1_b32 s20, s3, exec_lo
	s_or_not1_b32 s3, s2, exec_lo
.LBB77_7:                               ;   in Loop: Header=BB77_10 Depth=1
	s_or_b32 exec_lo, exec_lo, s19
	s_delay_alu instid0(SALU_CYCLE_1)
	s_or_not1_b32 s19, s20, exec_lo
	s_or_not1_b32 s2, s3, exec_lo
.LBB77_8:                               ;   in Loop: Header=BB77_10 Depth=1
	s_or_b32 exec_lo, exec_lo, s18
	s_delay_alu instid0(SALU_CYCLE_1)
	s_and_not1_b32 s3, s16, exec_lo
	s_and_b32 s16, s19, exec_lo
	s_and_not1_b32 s15, s15, exec_lo
	s_and_b32 s2, s2, exec_lo
	s_or_b32 s16, s3, s16
	s_or_b32 s15, s15, s2
.LBB77_9:                               ;   in Loop: Header=BB77_10 Depth=1
	s_or_b32 exec_lo, exec_lo, s17
	s_delay_alu instid0(SALU_CYCLE_1) | instskip(NEXT) | instid1(SALU_CYCLE_1)
	s_and_b32 s2, exec_lo, s15
	s_or_b32 s13, s2, s13
	s_and_not1_b32 s2, s14, exec_lo
	s_and_b32 s3, s16, exec_lo
	s_delay_alu instid0(SALU_CYCLE_1)
	s_or_b32 s14, s2, s3
	s_and_not1_b32 exec_lo, exec_lo, s13
	s_cbranch_execz .LBB77_27
.LBB77_10:                              ; =>This Inner Loop Header: Depth=1
	global_load_b64 v[14:15], v[10:11], off offset:8
	v_mov_b32_e32 v20, 4
	s_or_b32 s16, s16, exec_lo
	s_or_b32 s15, s15, exec_lo
	s_wait_loadcnt 0x0
	v_sub_nc_u64_e64 v[16:17], v[14:15], s[4:5]
	s_delay_alu instid0(VALU_DEP_1) | instskip(SKIP_2) | instid1(SALU_CYCLE_1)
	v_cmp_lt_i64_e32 vcc_lo, -1, v[16:17]
	v_cmp_gt_i64_e64 s2, s[6:7], v[16:17]
	s_and_b32 s2, vcc_lo, s2
	s_and_saveexec_b32 s17, s2
	s_cbranch_execz .LBB77_9
; %bb.11:                               ;   in Loop: Header=BB77_10 Depth=1
	v_cmp_le_i64_e64 s21, v[0:1], v[6:7]
	v_mov_b32_e32 v20, 4
	s_mov_b32 s18, exec_lo
	s_mov_b32 s3, s21
	v_cmpx_gt_i64_e64 v[0:1], v[6:7]
	s_cbranch_execz .LBB77_13
; %bb.12:                               ;   in Loop: Header=BB77_10 Depth=1
	global_load_b128 v[18:21], v[8:9], off
	s_wait_loadcnt 0x0
	v_sub_nc_u64_e64 v[22:23], v[18:19], s[4:5]
	v_cmp_ne_u64_e64 s3, v[20:21], v[18:19]
	v_mov_b32_e32 v20, 5
	s_delay_alu instid0(VALU_DEP_3) | instskip(SKIP_2) | instid1(SALU_CYCLE_1)
	v_cmp_lt_i64_e32 vcc_lo, -1, v[22:23]
	v_cmp_gt_i64_e64 s2, s[6:7], v[22:23]
	s_and_b32 s2, vcc_lo, s2
	s_xor_b32 s2, s2, -1
	s_delay_alu instid0(SALU_CYCLE_1) | instskip(SKIP_2) | instid1(SALU_CYCLE_1)
	s_or_b32 s2, s3, s2
	s_and_not1_b32 s3, s21, exec_lo
	s_and_b32 s2, s2, exec_lo
	s_or_b32 s3, s3, s2
.LBB77_13:                              ;   in Loop: Header=BB77_10 Depth=1
	s_or_b32 exec_lo, exec_lo, s18
	s_mov_b32 s2, -1
	s_mov_b32 s19, -1
	s_and_saveexec_b32 s18, s3
	s_cbranch_execz .LBB77_8
; %bb.14:                               ;   in Loop: Header=BB77_10 Depth=1
	global_load_b64 v[18:19], v[12:13], off offset:-4
	v_mov_b32_e32 v20, 1
	s_mov_b32 s3, -1
	s_mov_b32 s20, -1
	s_wait_loadcnt 0x0
	v_cmp_neq_f32_e32 vcc_lo, 0x7f800000, v18
	v_cmp_neq_f32_e64 s2, 0x7f800000, v19
	s_and_b32 s2, vcc_lo, s2
	s_delay_alu instid0(SALU_CYCLE_1)
	s_and_saveexec_b32 s19, s2
	s_cbranch_execz .LBB77_7
; %bb.15:                               ;   in Loop: Header=BB77_10 Depth=1
	v_mov_b32_e32 v20, 2
	s_mov_b32 s2, -1
	s_mov_b32 s20, exec_lo
	v_cmpx_o_f32_e32 v18, v19
	s_cbranch_execz .LBB77_6
; %bb.16:                               ;   in Loop: Header=BB77_10 Depth=1
	s_and_b32 vcc_lo, exec_lo, s10
	s_cbranch_vccz .LBB77_19
; %bb.17:                               ;   in Loop: Header=BB77_10 Depth=1
	s_and_b32 vcc_lo, exec_lo, s11
	s_cbranch_vccz .LBB77_20
; %bb.18:                               ;   in Loop: Header=BB77_10 Depth=1
	v_cmp_ge_i64_e32 vcc_lo, v[16:17], v[2:3]
	s_mov_b32 s3, 7
	s_and_b32 s23, vcc_lo, exec_lo
	s_cbranch_execz .LBB77_21
	s_branch .LBB77_22
.LBB77_19:                              ;   in Loop: Header=BB77_10 Depth=1
	s_mov_b32 s3, 2
	s_mov_b32 s23, -1
	s_branch .LBB77_22
.LBB77_20:                              ;   in Loop: Header=BB77_10 Depth=1
	s_mov_b32 s23, 0
	s_mov_b32 s3, 2
.LBB77_21:                              ;   in Loop: Header=BB77_10 Depth=1
	v_cmp_le_i64_e32 vcc_lo, v[16:17], v[2:3]
	s_and_not1_b32 s22, s23, exec_lo
	s_mov_b32 s3, 7
	s_and_b32 s23, vcc_lo, exec_lo
	s_delay_alu instid0(SALU_CYCLE_1)
	s_or_b32 s23, s22, s23
.LBB77_22:                              ;   in Loop: Header=BB77_10 Depth=1
	v_mov_b32_e32 v20, s3
	s_mov_b32 s24, -1
	s_and_saveexec_b32 s22, s23
	s_cbranch_execz .LBB77_5
; %bb.23:                               ;   in Loop: Header=BB77_10 Depth=1
	v_mov_b32_e32 v20, s3
	s_nor_b32 s2, s12, s21
	s_mov_b32 s21, -1
	s_and_saveexec_b32 s23, s2
	s_cbranch_execz .LBB77_25
; %bb.24:                               ;   in Loop: Header=BB77_10 Depth=1
	global_load_b64 v[16:17], v[10:11], off
	v_mov_b32_e32 v20, 6
	s_wait_loadcnt 0x0
	v_sub_nc_u64_e64 v[18:19], v[16:17], s[4:5]
	v_cmp_gt_i64_e64 s3, v[14:15], v[16:17]
	s_delay_alu instid0(VALU_DEP_2) | instskip(SKIP_2) | instid1(SALU_CYCLE_1)
	v_cmp_lt_i64_e32 vcc_lo, -1, v[18:19]
	v_cmp_gt_i64_e64 s2, s[6:7], v[18:19]
	s_and_b32 s2, vcc_lo, s2
	s_xor_b32 s2, s2, -1
	s_delay_alu instid0(SALU_CYCLE_1) | instskip(NEXT) | instid1(SALU_CYCLE_1)
	s_or_b32 s2, s3, s2
	s_or_not1_b32 s24, s2, exec_lo
.LBB77_25:                              ;   in Loop: Header=BB77_10 Depth=1
	s_or_b32 exec_lo, exec_lo, s23
	s_mov_b32 s2, -1
	s_and_saveexec_b32 s3, s24
	s_cbranch_execz .LBB77_4
; %bb.26:                               ;   in Loop: Header=BB77_10 Depth=1
	v_add_nc_u64_e32 v[0:1], 8, v[0:1]
	v_add_nc_u64_e32 v[8:9], 64, v[8:9]
	;; [unrolled: 1-line block ×4, first 2 shown]
	s_xor_b32 s2, exec_lo, -1
	s_delay_alu instid0(VALU_DEP_4)
	v_cmp_ge_i64_e32 vcc_lo, v[0:1], v[4:5]
	s_or_not1_b32 s21, vcc_lo, exec_lo
	s_branch .LBB77_4
.LBB77_27:
	s_or_b32 exec_lo, exec_lo, s13
	s_delay_alu instid0(SALU_CYCLE_1)
	s_and_b32 s2, s14, exec_lo
.LBB77_28:
	s_or_b32 exec_lo, exec_lo, s9
	s_delay_alu instid0(SALU_CYCLE_1)
	s_or_not1_b32 s2, s2, exec_lo
.LBB77_29:
	s_or_b32 exec_lo, exec_lo, s8
	s_delay_alu instid0(SALU_CYCLE_1)
	s_and_b32 exec_lo, exec_lo, s2
	s_cbranch_execz .LBB77_31
; %bb.30:
	s_load_b64 s[0:1], s[0:1], 0x48
	v_mov_b32_e32 v0, 0
	s_wait_kmcnt 0x0
	global_store_b32 v0, v20, s[0:1]
.LBB77_31:
	s_endpgm
	.section	.rodata,"a",@progbits
	.p2align	6, 0x0
	.amdhsa_kernel _ZN9rocsparseL23check_matrix_csr_deviceILj256ELj8E21rocsparse_complex_numIfEllEEvT3_S3_T2_PKT1_PKS4_PKS3_SB_21rocsparse_index_base_22rocsparse_matrix_type_20rocsparse_fill_mode_23rocsparse_storage_mode_P22rocsparse_data_status_
		.amdhsa_group_segment_fixed_size 0
		.amdhsa_private_segment_fixed_size 0
		.amdhsa_kernarg_size 80
		.amdhsa_user_sgpr_count 2
		.amdhsa_user_sgpr_dispatch_ptr 0
		.amdhsa_user_sgpr_queue_ptr 0
		.amdhsa_user_sgpr_kernarg_segment_ptr 1
		.amdhsa_user_sgpr_dispatch_id 0
		.amdhsa_user_sgpr_kernarg_preload_length 0
		.amdhsa_user_sgpr_kernarg_preload_offset 0
		.amdhsa_user_sgpr_private_segment_size 0
		.amdhsa_wavefront_size32 1
		.amdhsa_uses_dynamic_stack 0
		.amdhsa_enable_private_segment 0
		.amdhsa_system_sgpr_workgroup_id_x 1
		.amdhsa_system_sgpr_workgroup_id_y 0
		.amdhsa_system_sgpr_workgroup_id_z 0
		.amdhsa_system_sgpr_workgroup_info 0
		.amdhsa_system_vgpr_workitem_id 0
		.amdhsa_next_free_vgpr 24
		.amdhsa_next_free_sgpr 25
		.amdhsa_named_barrier_count 0
		.amdhsa_reserve_vcc 1
		.amdhsa_float_round_mode_32 0
		.amdhsa_float_round_mode_16_64 0
		.amdhsa_float_denorm_mode_32 3
		.amdhsa_float_denorm_mode_16_64 3
		.amdhsa_fp16_overflow 0
		.amdhsa_memory_ordered 1
		.amdhsa_forward_progress 1
		.amdhsa_inst_pref_size 9
		.amdhsa_round_robin_scheduling 0
		.amdhsa_exception_fp_ieee_invalid_op 0
		.amdhsa_exception_fp_denorm_src 0
		.amdhsa_exception_fp_ieee_div_zero 0
		.amdhsa_exception_fp_ieee_overflow 0
		.amdhsa_exception_fp_ieee_underflow 0
		.amdhsa_exception_fp_ieee_inexact 0
		.amdhsa_exception_int_div_zero 0
	.end_amdhsa_kernel
	.section	.text._ZN9rocsparseL23check_matrix_csr_deviceILj256ELj8E21rocsparse_complex_numIfEllEEvT3_S3_T2_PKT1_PKS4_PKS3_SB_21rocsparse_index_base_22rocsparse_matrix_type_20rocsparse_fill_mode_23rocsparse_storage_mode_P22rocsparse_data_status_,"axG",@progbits,_ZN9rocsparseL23check_matrix_csr_deviceILj256ELj8E21rocsparse_complex_numIfEllEEvT3_S3_T2_PKT1_PKS4_PKS3_SB_21rocsparse_index_base_22rocsparse_matrix_type_20rocsparse_fill_mode_23rocsparse_storage_mode_P22rocsparse_data_status_,comdat
.Lfunc_end77:
	.size	_ZN9rocsparseL23check_matrix_csr_deviceILj256ELj8E21rocsparse_complex_numIfEllEEvT3_S3_T2_PKT1_PKS4_PKS3_SB_21rocsparse_index_base_22rocsparse_matrix_type_20rocsparse_fill_mode_23rocsparse_storage_mode_P22rocsparse_data_status_, .Lfunc_end77-_ZN9rocsparseL23check_matrix_csr_deviceILj256ELj8E21rocsparse_complex_numIfEllEEvT3_S3_T2_PKT1_PKS4_PKS3_SB_21rocsparse_index_base_22rocsparse_matrix_type_20rocsparse_fill_mode_23rocsparse_storage_mode_P22rocsparse_data_status_
                                        ; -- End function
	.set _ZN9rocsparseL23check_matrix_csr_deviceILj256ELj8E21rocsparse_complex_numIfEllEEvT3_S3_T2_PKT1_PKS4_PKS3_SB_21rocsparse_index_base_22rocsparse_matrix_type_20rocsparse_fill_mode_23rocsparse_storage_mode_P22rocsparse_data_status_.num_vgpr, 24
	.set _ZN9rocsparseL23check_matrix_csr_deviceILj256ELj8E21rocsparse_complex_numIfEllEEvT3_S3_T2_PKT1_PKS4_PKS3_SB_21rocsparse_index_base_22rocsparse_matrix_type_20rocsparse_fill_mode_23rocsparse_storage_mode_P22rocsparse_data_status_.num_agpr, 0
	.set _ZN9rocsparseL23check_matrix_csr_deviceILj256ELj8E21rocsparse_complex_numIfEllEEvT3_S3_T2_PKT1_PKS4_PKS3_SB_21rocsparse_index_base_22rocsparse_matrix_type_20rocsparse_fill_mode_23rocsparse_storage_mode_P22rocsparse_data_status_.numbered_sgpr, 25
	.set _ZN9rocsparseL23check_matrix_csr_deviceILj256ELj8E21rocsparse_complex_numIfEllEEvT3_S3_T2_PKT1_PKS4_PKS3_SB_21rocsparse_index_base_22rocsparse_matrix_type_20rocsparse_fill_mode_23rocsparse_storage_mode_P22rocsparse_data_status_.num_named_barrier, 0
	.set _ZN9rocsparseL23check_matrix_csr_deviceILj256ELj8E21rocsparse_complex_numIfEllEEvT3_S3_T2_PKT1_PKS4_PKS3_SB_21rocsparse_index_base_22rocsparse_matrix_type_20rocsparse_fill_mode_23rocsparse_storage_mode_P22rocsparse_data_status_.private_seg_size, 0
	.set _ZN9rocsparseL23check_matrix_csr_deviceILj256ELj8E21rocsparse_complex_numIfEllEEvT3_S3_T2_PKT1_PKS4_PKS3_SB_21rocsparse_index_base_22rocsparse_matrix_type_20rocsparse_fill_mode_23rocsparse_storage_mode_P22rocsparse_data_status_.uses_vcc, 1
	.set _ZN9rocsparseL23check_matrix_csr_deviceILj256ELj8E21rocsparse_complex_numIfEllEEvT3_S3_T2_PKT1_PKS4_PKS3_SB_21rocsparse_index_base_22rocsparse_matrix_type_20rocsparse_fill_mode_23rocsparse_storage_mode_P22rocsparse_data_status_.uses_flat_scratch, 0
	.set _ZN9rocsparseL23check_matrix_csr_deviceILj256ELj8E21rocsparse_complex_numIfEllEEvT3_S3_T2_PKT1_PKS4_PKS3_SB_21rocsparse_index_base_22rocsparse_matrix_type_20rocsparse_fill_mode_23rocsparse_storage_mode_P22rocsparse_data_status_.has_dyn_sized_stack, 0
	.set _ZN9rocsparseL23check_matrix_csr_deviceILj256ELj8E21rocsparse_complex_numIfEllEEvT3_S3_T2_PKT1_PKS4_PKS3_SB_21rocsparse_index_base_22rocsparse_matrix_type_20rocsparse_fill_mode_23rocsparse_storage_mode_P22rocsparse_data_status_.has_recursion, 0
	.set _ZN9rocsparseL23check_matrix_csr_deviceILj256ELj8E21rocsparse_complex_numIfEllEEvT3_S3_T2_PKT1_PKS4_PKS3_SB_21rocsparse_index_base_22rocsparse_matrix_type_20rocsparse_fill_mode_23rocsparse_storage_mode_P22rocsparse_data_status_.has_indirect_call, 0
	.section	.AMDGPU.csdata,"",@progbits
; Kernel info:
; codeLenInByte = 1072
; TotalNumSgprs: 27
; NumVgprs: 24
; ScratchSize: 0
; MemoryBound: 0
; FloatMode: 240
; IeeeMode: 1
; LDSByteSize: 0 bytes/workgroup (compile time only)
; SGPRBlocks: 0
; VGPRBlocks: 1
; NumSGPRsForWavesPerEU: 27
; NumVGPRsForWavesPerEU: 24
; NamedBarCnt: 0
; Occupancy: 16
; WaveLimiterHint : 0
; COMPUTE_PGM_RSRC2:SCRATCH_EN: 0
; COMPUTE_PGM_RSRC2:USER_SGPR: 2
; COMPUTE_PGM_RSRC2:TRAP_HANDLER: 0
; COMPUTE_PGM_RSRC2:TGID_X_EN: 1
; COMPUTE_PGM_RSRC2:TGID_Y_EN: 0
; COMPUTE_PGM_RSRC2:TGID_Z_EN: 0
; COMPUTE_PGM_RSRC2:TIDIG_COMP_CNT: 0
	.section	.text._ZN9rocsparseL23check_matrix_csr_deviceILj256ELj16E21rocsparse_complex_numIfEllEEvT3_S3_T2_PKT1_PKS4_PKS3_SB_21rocsparse_index_base_22rocsparse_matrix_type_20rocsparse_fill_mode_23rocsparse_storage_mode_P22rocsparse_data_status_,"axG",@progbits,_ZN9rocsparseL23check_matrix_csr_deviceILj256ELj16E21rocsparse_complex_numIfEllEEvT3_S3_T2_PKT1_PKS4_PKS3_SB_21rocsparse_index_base_22rocsparse_matrix_type_20rocsparse_fill_mode_23rocsparse_storage_mode_P22rocsparse_data_status_,comdat
	.globl	_ZN9rocsparseL23check_matrix_csr_deviceILj256ELj16E21rocsparse_complex_numIfEllEEvT3_S3_T2_PKT1_PKS4_PKS3_SB_21rocsparse_index_base_22rocsparse_matrix_type_20rocsparse_fill_mode_23rocsparse_storage_mode_P22rocsparse_data_status_ ; -- Begin function _ZN9rocsparseL23check_matrix_csr_deviceILj256ELj16E21rocsparse_complex_numIfEllEEvT3_S3_T2_PKT1_PKS4_PKS3_SB_21rocsparse_index_base_22rocsparse_matrix_type_20rocsparse_fill_mode_23rocsparse_storage_mode_P22rocsparse_data_status_
	.p2align	8
	.type	_ZN9rocsparseL23check_matrix_csr_deviceILj256ELj16E21rocsparse_complex_numIfEllEEvT3_S3_T2_PKT1_PKS4_PKS3_SB_21rocsparse_index_base_22rocsparse_matrix_type_20rocsparse_fill_mode_23rocsparse_storage_mode_P22rocsparse_data_status_,@function
_ZN9rocsparseL23check_matrix_csr_deviceILj256ELj16E21rocsparse_complex_numIfEllEEvT3_S3_T2_PKT1_PKS4_PKS3_SB_21rocsparse_index_base_22rocsparse_matrix_type_20rocsparse_fill_mode_23rocsparse_storage_mode_P22rocsparse_data_status_: ; @_ZN9rocsparseL23check_matrix_csr_deviceILj256ELj16E21rocsparse_complex_numIfEllEEvT3_S3_T2_PKT1_PKS4_PKS3_SB_21rocsparse_index_base_22rocsparse_matrix_type_20rocsparse_fill_mode_23rocsparse_storage_mode_P22rocsparse_data_status_
; %bb.0:
	s_bfe_u32 s2, ttmp6, 0x4000c
	s_load_b128 s[4:7], s[0:1], 0x0
	s_add_co_i32 s2, s2, 1
	s_and_b32 s3, ttmp6, 15
	s_mul_i32 s2, ttmp9, s2
	s_getreg_b32 s8, hwreg(HW_REG_IB_STS2, 6, 4)
	s_add_co_i32 s3, s3, s2
	s_cmp_eq_u32 s8, 0
	v_mov_b32_e32 v3, 0
	s_cselect_b32 s2, ttmp9, s3
	s_delay_alu instid0(SALU_CYCLE_1) | instskip(SKIP_1) | instid1(VALU_DEP_1)
	v_lshl_or_b32 v1, s2, 8, v0
	s_mov_b32 s2, exec_lo
	v_lshrrev_b32_e32 v2, 4, v1
	s_wait_kmcnt 0x0
	s_delay_alu instid0(VALU_DEP_1)
	v_cmpx_gt_i64_e64 s[4:5], v[2:3]
	s_cbranch_execz .LBB78_31
; %bb.1:
	s_load_b64 s[2:3], s[0:1], 0x20
	v_dual_mov_b32 v20, 3 :: v_dual_lshlrev_b32 v1, 3, v2
	s_wait_kmcnt 0x0
	global_load_b128 v[8:11], v1, s[2:3]
	s_wait_xcnt 0x0
	s_load_b64 s[2:3], s[2:3], 0x0
	s_wait_loadcnt 0x0
	s_wait_kmcnt 0x0
	v_sub_nc_u64_e64 v[4:5], v[10:11], s[2:3]
	v_sub_nc_u64_e64 v[6:7], v[8:9], s[2:3]
	v_cmp_lt_i64_e64 s2, v[10:11], v[8:9]
	s_delay_alu instid0(VALU_DEP_3) | instskip(NEXT) | instid1(VALU_DEP_3)
	v_cmp_gt_i64_e32 vcc_lo, 0, v[4:5]
	v_cmp_lt_i64_e64 s3, -1, v[6:7]
	s_or_b32 s2, vcc_lo, s2
	s_delay_alu instid0(SALU_CYCLE_1) | instskip(SKIP_2) | instid1(SALU_CYCLE_1)
	s_xor_b32 s4, s2, -1
	s_mov_b32 s2, -1
	s_and_b32 s3, s3, s4
	s_and_saveexec_b32 s8, s3
	s_cbranch_execz .LBB78_29
; %bb.2:
	v_dual_mov_b32 v1, 0 :: v_dual_bitop2_b32 v0, 15, v0 bitop3:0x40
	v_mov_b32_e32 v20, 3
	s_mov_b32 s2, 0
	s_mov_b32 s9, exec_lo
	s_delay_alu instid0(VALU_DEP_2) | instskip(NEXT) | instid1(VALU_DEP_1)
	v_add_nc_u64_e32 v[0:1], v[6:7], v[0:1]
	v_cmpx_lt_u64_e64 v[0:1], v[4:5]
	s_cbranch_execz .LBB78_28
; %bb.3:
	s_clause 0x1
	s_load_b64 s[2:3], s[0:1], 0x18
	s_load_b256 s[12:19], s[0:1], 0x28
	v_lshlrev_b64_e32 v[8:9], 3, v[0:1]
	s_mov_b32 s5, 0
	s_delay_alu instid0(VALU_DEP_1) | instskip(SKIP_3) | instid1(VALU_DEP_2)
	v_add_nc_u64_e32 v[10:11], -8, v[8:9]
	s_wait_kmcnt 0x0
	v_add_nc_u64_e32 v[12:13], s[2:3], v[8:9]
	s_cmp_lg_u32 s17, 0
	v_add_nc_u64_e32 v[8:9], s[14:15], v[10:11]
	v_add_nc_u64_e32 v[10:11], s[12:13], v[10:11]
	s_cselect_b32 s10, -1, 0
	s_cmp_lg_u32 s18, 0
	s_mov_b32 s4, s16
	v_add_nc_u64_e32 v[12:13], 4, v[12:13]
	s_cselect_b32 s11, -1, 0
	s_cmp_lg_u32 s19, 0
	s_mov_b32 s13, s5
	s_cselect_b32 s12, -1, 0
                                        ; implicit-def: $sgpr14
                                        ; implicit-def: $sgpr15
                                        ; implicit-def: $sgpr16
	s_branch .LBB78_10
.LBB78_4:                               ;   in Loop: Header=BB78_10 Depth=1
	s_or_b32 exec_lo, exec_lo, s3
	s_delay_alu instid0(SALU_CYCLE_1)
	s_or_not1_b32 s24, s2, exec_lo
	s_or_not1_b32 s2, s21, exec_lo
.LBB78_5:                               ;   in Loop: Header=BB78_10 Depth=1
	s_or_b32 exec_lo, exec_lo, s22
	s_delay_alu instid0(SALU_CYCLE_1)
	s_or_not1_b32 s3, s24, exec_lo
	s_or_not1_b32 s2, s2, exec_lo
.LBB78_6:                               ;   in Loop: Header=BB78_10 Depth=1
	s_or_b32 exec_lo, exec_lo, s20
	s_delay_alu instid0(SALU_CYCLE_1)
	s_or_not1_b32 s20, s3, exec_lo
	s_or_not1_b32 s3, s2, exec_lo
.LBB78_7:                               ;   in Loop: Header=BB78_10 Depth=1
	s_or_b32 exec_lo, exec_lo, s19
	s_delay_alu instid0(SALU_CYCLE_1)
	s_or_not1_b32 s19, s20, exec_lo
	s_or_not1_b32 s2, s3, exec_lo
.LBB78_8:                               ;   in Loop: Header=BB78_10 Depth=1
	s_or_b32 exec_lo, exec_lo, s18
	s_delay_alu instid0(SALU_CYCLE_1)
	s_and_not1_b32 s3, s16, exec_lo
	s_and_b32 s16, s19, exec_lo
	s_and_not1_b32 s15, s15, exec_lo
	s_and_b32 s2, s2, exec_lo
	s_or_b32 s16, s3, s16
	s_or_b32 s15, s15, s2
.LBB78_9:                               ;   in Loop: Header=BB78_10 Depth=1
	s_or_b32 exec_lo, exec_lo, s17
	s_delay_alu instid0(SALU_CYCLE_1) | instskip(NEXT) | instid1(SALU_CYCLE_1)
	s_and_b32 s2, exec_lo, s15
	s_or_b32 s13, s2, s13
	s_and_not1_b32 s2, s14, exec_lo
	s_and_b32 s3, s16, exec_lo
	s_delay_alu instid0(SALU_CYCLE_1)
	s_or_b32 s14, s2, s3
	s_and_not1_b32 exec_lo, exec_lo, s13
	s_cbranch_execz .LBB78_27
.LBB78_10:                              ; =>This Inner Loop Header: Depth=1
	global_load_b64 v[14:15], v[10:11], off offset:8
	v_mov_b32_e32 v20, 4
	s_or_b32 s16, s16, exec_lo
	s_or_b32 s15, s15, exec_lo
	s_wait_loadcnt 0x0
	v_sub_nc_u64_e64 v[16:17], v[14:15], s[4:5]
	s_delay_alu instid0(VALU_DEP_1) | instskip(SKIP_2) | instid1(SALU_CYCLE_1)
	v_cmp_lt_i64_e32 vcc_lo, -1, v[16:17]
	v_cmp_gt_i64_e64 s2, s[6:7], v[16:17]
	s_and_b32 s2, vcc_lo, s2
	s_and_saveexec_b32 s17, s2
	s_cbranch_execz .LBB78_9
; %bb.11:                               ;   in Loop: Header=BB78_10 Depth=1
	v_cmp_le_i64_e64 s21, v[0:1], v[6:7]
	v_mov_b32_e32 v20, 4
	s_mov_b32 s18, exec_lo
	s_mov_b32 s3, s21
	v_cmpx_gt_i64_e64 v[0:1], v[6:7]
	s_cbranch_execz .LBB78_13
; %bb.12:                               ;   in Loop: Header=BB78_10 Depth=1
	global_load_b128 v[18:21], v[8:9], off
	s_wait_loadcnt 0x0
	v_sub_nc_u64_e64 v[22:23], v[18:19], s[4:5]
	v_cmp_ne_u64_e64 s3, v[20:21], v[18:19]
	v_mov_b32_e32 v20, 5
	s_delay_alu instid0(VALU_DEP_3) | instskip(SKIP_2) | instid1(SALU_CYCLE_1)
	v_cmp_lt_i64_e32 vcc_lo, -1, v[22:23]
	v_cmp_gt_i64_e64 s2, s[6:7], v[22:23]
	s_and_b32 s2, vcc_lo, s2
	s_xor_b32 s2, s2, -1
	s_delay_alu instid0(SALU_CYCLE_1) | instskip(SKIP_2) | instid1(SALU_CYCLE_1)
	s_or_b32 s2, s3, s2
	s_and_not1_b32 s3, s21, exec_lo
	s_and_b32 s2, s2, exec_lo
	s_or_b32 s3, s3, s2
.LBB78_13:                              ;   in Loop: Header=BB78_10 Depth=1
	s_or_b32 exec_lo, exec_lo, s18
	s_mov_b32 s2, -1
	s_mov_b32 s19, -1
	s_and_saveexec_b32 s18, s3
	s_cbranch_execz .LBB78_8
; %bb.14:                               ;   in Loop: Header=BB78_10 Depth=1
	global_load_b64 v[18:19], v[12:13], off offset:-4
	v_mov_b32_e32 v20, 1
	s_mov_b32 s3, -1
	s_mov_b32 s20, -1
	s_wait_loadcnt 0x0
	v_cmp_neq_f32_e32 vcc_lo, 0x7f800000, v18
	v_cmp_neq_f32_e64 s2, 0x7f800000, v19
	s_and_b32 s2, vcc_lo, s2
	s_delay_alu instid0(SALU_CYCLE_1)
	s_and_saveexec_b32 s19, s2
	s_cbranch_execz .LBB78_7
; %bb.15:                               ;   in Loop: Header=BB78_10 Depth=1
	v_mov_b32_e32 v20, 2
	s_mov_b32 s2, -1
	s_mov_b32 s20, exec_lo
	v_cmpx_o_f32_e32 v18, v19
	s_cbranch_execz .LBB78_6
; %bb.16:                               ;   in Loop: Header=BB78_10 Depth=1
	s_and_b32 vcc_lo, exec_lo, s10
	s_cbranch_vccz .LBB78_19
; %bb.17:                               ;   in Loop: Header=BB78_10 Depth=1
	s_and_b32 vcc_lo, exec_lo, s11
	s_cbranch_vccz .LBB78_20
; %bb.18:                               ;   in Loop: Header=BB78_10 Depth=1
	v_cmp_ge_i64_e32 vcc_lo, v[16:17], v[2:3]
	s_mov_b32 s3, 7
	s_and_b32 s23, vcc_lo, exec_lo
	s_cbranch_execz .LBB78_21
	s_branch .LBB78_22
.LBB78_19:                              ;   in Loop: Header=BB78_10 Depth=1
	s_mov_b32 s3, 2
	s_mov_b32 s23, -1
	s_branch .LBB78_22
.LBB78_20:                              ;   in Loop: Header=BB78_10 Depth=1
	s_mov_b32 s23, 0
	s_mov_b32 s3, 2
.LBB78_21:                              ;   in Loop: Header=BB78_10 Depth=1
	v_cmp_le_i64_e32 vcc_lo, v[16:17], v[2:3]
	s_and_not1_b32 s22, s23, exec_lo
	s_mov_b32 s3, 7
	s_and_b32 s23, vcc_lo, exec_lo
	s_delay_alu instid0(SALU_CYCLE_1)
	s_or_b32 s23, s22, s23
.LBB78_22:                              ;   in Loop: Header=BB78_10 Depth=1
	v_mov_b32_e32 v20, s3
	s_mov_b32 s24, -1
	s_and_saveexec_b32 s22, s23
	s_cbranch_execz .LBB78_5
; %bb.23:                               ;   in Loop: Header=BB78_10 Depth=1
	v_mov_b32_e32 v20, s3
	s_nor_b32 s2, s12, s21
	s_mov_b32 s21, -1
	s_and_saveexec_b32 s23, s2
	s_cbranch_execz .LBB78_25
; %bb.24:                               ;   in Loop: Header=BB78_10 Depth=1
	global_load_b64 v[16:17], v[10:11], off
	v_mov_b32_e32 v20, 6
	s_wait_loadcnt 0x0
	v_sub_nc_u64_e64 v[18:19], v[16:17], s[4:5]
	v_cmp_gt_i64_e64 s3, v[14:15], v[16:17]
	s_delay_alu instid0(VALU_DEP_2) | instskip(SKIP_2) | instid1(SALU_CYCLE_1)
	v_cmp_lt_i64_e32 vcc_lo, -1, v[18:19]
	v_cmp_gt_i64_e64 s2, s[6:7], v[18:19]
	s_and_b32 s2, vcc_lo, s2
	s_xor_b32 s2, s2, -1
	s_delay_alu instid0(SALU_CYCLE_1) | instskip(NEXT) | instid1(SALU_CYCLE_1)
	s_or_b32 s2, s3, s2
	s_or_not1_b32 s24, s2, exec_lo
.LBB78_25:                              ;   in Loop: Header=BB78_10 Depth=1
	s_or_b32 exec_lo, exec_lo, s23
	s_mov_b32 s2, -1
	s_and_saveexec_b32 s3, s24
	s_cbranch_execz .LBB78_4
; %bb.26:                               ;   in Loop: Header=BB78_10 Depth=1
	v_add_nc_u64_e32 v[0:1], 16, v[0:1]
	v_add_nc_u64_e32 v[8:9], 0x80, v[8:9]
	;; [unrolled: 1-line block ×4, first 2 shown]
	s_xor_b32 s2, exec_lo, -1
	s_delay_alu instid0(VALU_DEP_4)
	v_cmp_ge_i64_e32 vcc_lo, v[0:1], v[4:5]
	s_or_not1_b32 s21, vcc_lo, exec_lo
	s_branch .LBB78_4
.LBB78_27:
	s_or_b32 exec_lo, exec_lo, s13
	s_delay_alu instid0(SALU_CYCLE_1)
	s_and_b32 s2, s14, exec_lo
.LBB78_28:
	s_or_b32 exec_lo, exec_lo, s9
	s_delay_alu instid0(SALU_CYCLE_1)
	s_or_not1_b32 s2, s2, exec_lo
.LBB78_29:
	s_or_b32 exec_lo, exec_lo, s8
	s_delay_alu instid0(SALU_CYCLE_1)
	s_and_b32 exec_lo, exec_lo, s2
	s_cbranch_execz .LBB78_31
; %bb.30:
	s_load_b64 s[0:1], s[0:1], 0x48
	v_mov_b32_e32 v0, 0
	s_wait_kmcnt 0x0
	global_store_b32 v0, v20, s[0:1]
.LBB78_31:
	s_endpgm
	.section	.rodata,"a",@progbits
	.p2align	6, 0x0
	.amdhsa_kernel _ZN9rocsparseL23check_matrix_csr_deviceILj256ELj16E21rocsparse_complex_numIfEllEEvT3_S3_T2_PKT1_PKS4_PKS3_SB_21rocsparse_index_base_22rocsparse_matrix_type_20rocsparse_fill_mode_23rocsparse_storage_mode_P22rocsparse_data_status_
		.amdhsa_group_segment_fixed_size 0
		.amdhsa_private_segment_fixed_size 0
		.amdhsa_kernarg_size 80
		.amdhsa_user_sgpr_count 2
		.amdhsa_user_sgpr_dispatch_ptr 0
		.amdhsa_user_sgpr_queue_ptr 0
		.amdhsa_user_sgpr_kernarg_segment_ptr 1
		.amdhsa_user_sgpr_dispatch_id 0
		.amdhsa_user_sgpr_kernarg_preload_length 0
		.amdhsa_user_sgpr_kernarg_preload_offset 0
		.amdhsa_user_sgpr_private_segment_size 0
		.amdhsa_wavefront_size32 1
		.amdhsa_uses_dynamic_stack 0
		.amdhsa_enable_private_segment 0
		.amdhsa_system_sgpr_workgroup_id_x 1
		.amdhsa_system_sgpr_workgroup_id_y 0
		.amdhsa_system_sgpr_workgroup_id_z 0
		.amdhsa_system_sgpr_workgroup_info 0
		.amdhsa_system_vgpr_workitem_id 0
		.amdhsa_next_free_vgpr 24
		.amdhsa_next_free_sgpr 25
		.amdhsa_named_barrier_count 0
		.amdhsa_reserve_vcc 1
		.amdhsa_float_round_mode_32 0
		.amdhsa_float_round_mode_16_64 0
		.amdhsa_float_denorm_mode_32 3
		.amdhsa_float_denorm_mode_16_64 3
		.amdhsa_fp16_overflow 0
		.amdhsa_memory_ordered 1
		.amdhsa_forward_progress 1
		.amdhsa_inst_pref_size 9
		.amdhsa_round_robin_scheduling 0
		.amdhsa_exception_fp_ieee_invalid_op 0
		.amdhsa_exception_fp_denorm_src 0
		.amdhsa_exception_fp_ieee_div_zero 0
		.amdhsa_exception_fp_ieee_overflow 0
		.amdhsa_exception_fp_ieee_underflow 0
		.amdhsa_exception_fp_ieee_inexact 0
		.amdhsa_exception_int_div_zero 0
	.end_amdhsa_kernel
	.section	.text._ZN9rocsparseL23check_matrix_csr_deviceILj256ELj16E21rocsparse_complex_numIfEllEEvT3_S3_T2_PKT1_PKS4_PKS3_SB_21rocsparse_index_base_22rocsparse_matrix_type_20rocsparse_fill_mode_23rocsparse_storage_mode_P22rocsparse_data_status_,"axG",@progbits,_ZN9rocsparseL23check_matrix_csr_deviceILj256ELj16E21rocsparse_complex_numIfEllEEvT3_S3_T2_PKT1_PKS4_PKS3_SB_21rocsparse_index_base_22rocsparse_matrix_type_20rocsparse_fill_mode_23rocsparse_storage_mode_P22rocsparse_data_status_,comdat
.Lfunc_end78:
	.size	_ZN9rocsparseL23check_matrix_csr_deviceILj256ELj16E21rocsparse_complex_numIfEllEEvT3_S3_T2_PKT1_PKS4_PKS3_SB_21rocsparse_index_base_22rocsparse_matrix_type_20rocsparse_fill_mode_23rocsparse_storage_mode_P22rocsparse_data_status_, .Lfunc_end78-_ZN9rocsparseL23check_matrix_csr_deviceILj256ELj16E21rocsparse_complex_numIfEllEEvT3_S3_T2_PKT1_PKS4_PKS3_SB_21rocsparse_index_base_22rocsparse_matrix_type_20rocsparse_fill_mode_23rocsparse_storage_mode_P22rocsparse_data_status_
                                        ; -- End function
	.set _ZN9rocsparseL23check_matrix_csr_deviceILj256ELj16E21rocsparse_complex_numIfEllEEvT3_S3_T2_PKT1_PKS4_PKS3_SB_21rocsparse_index_base_22rocsparse_matrix_type_20rocsparse_fill_mode_23rocsparse_storage_mode_P22rocsparse_data_status_.num_vgpr, 24
	.set _ZN9rocsparseL23check_matrix_csr_deviceILj256ELj16E21rocsparse_complex_numIfEllEEvT3_S3_T2_PKT1_PKS4_PKS3_SB_21rocsparse_index_base_22rocsparse_matrix_type_20rocsparse_fill_mode_23rocsparse_storage_mode_P22rocsparse_data_status_.num_agpr, 0
	.set _ZN9rocsparseL23check_matrix_csr_deviceILj256ELj16E21rocsparse_complex_numIfEllEEvT3_S3_T2_PKT1_PKS4_PKS3_SB_21rocsparse_index_base_22rocsparse_matrix_type_20rocsparse_fill_mode_23rocsparse_storage_mode_P22rocsparse_data_status_.numbered_sgpr, 25
	.set _ZN9rocsparseL23check_matrix_csr_deviceILj256ELj16E21rocsparse_complex_numIfEllEEvT3_S3_T2_PKT1_PKS4_PKS3_SB_21rocsparse_index_base_22rocsparse_matrix_type_20rocsparse_fill_mode_23rocsparse_storage_mode_P22rocsparse_data_status_.num_named_barrier, 0
	.set _ZN9rocsparseL23check_matrix_csr_deviceILj256ELj16E21rocsparse_complex_numIfEllEEvT3_S3_T2_PKT1_PKS4_PKS3_SB_21rocsparse_index_base_22rocsparse_matrix_type_20rocsparse_fill_mode_23rocsparse_storage_mode_P22rocsparse_data_status_.private_seg_size, 0
	.set _ZN9rocsparseL23check_matrix_csr_deviceILj256ELj16E21rocsparse_complex_numIfEllEEvT3_S3_T2_PKT1_PKS4_PKS3_SB_21rocsparse_index_base_22rocsparse_matrix_type_20rocsparse_fill_mode_23rocsparse_storage_mode_P22rocsparse_data_status_.uses_vcc, 1
	.set _ZN9rocsparseL23check_matrix_csr_deviceILj256ELj16E21rocsparse_complex_numIfEllEEvT3_S3_T2_PKT1_PKS4_PKS3_SB_21rocsparse_index_base_22rocsparse_matrix_type_20rocsparse_fill_mode_23rocsparse_storage_mode_P22rocsparse_data_status_.uses_flat_scratch, 0
	.set _ZN9rocsparseL23check_matrix_csr_deviceILj256ELj16E21rocsparse_complex_numIfEllEEvT3_S3_T2_PKT1_PKS4_PKS3_SB_21rocsparse_index_base_22rocsparse_matrix_type_20rocsparse_fill_mode_23rocsparse_storage_mode_P22rocsparse_data_status_.has_dyn_sized_stack, 0
	.set _ZN9rocsparseL23check_matrix_csr_deviceILj256ELj16E21rocsparse_complex_numIfEllEEvT3_S3_T2_PKT1_PKS4_PKS3_SB_21rocsparse_index_base_22rocsparse_matrix_type_20rocsparse_fill_mode_23rocsparse_storage_mode_P22rocsparse_data_status_.has_recursion, 0
	.set _ZN9rocsparseL23check_matrix_csr_deviceILj256ELj16E21rocsparse_complex_numIfEllEEvT3_S3_T2_PKT1_PKS4_PKS3_SB_21rocsparse_index_base_22rocsparse_matrix_type_20rocsparse_fill_mode_23rocsparse_storage_mode_P22rocsparse_data_status_.has_indirect_call, 0
	.section	.AMDGPU.csdata,"",@progbits
; Kernel info:
; codeLenInByte = 1084
; TotalNumSgprs: 27
; NumVgprs: 24
; ScratchSize: 0
; MemoryBound: 0
; FloatMode: 240
; IeeeMode: 1
; LDSByteSize: 0 bytes/workgroup (compile time only)
; SGPRBlocks: 0
; VGPRBlocks: 1
; NumSGPRsForWavesPerEU: 27
; NumVGPRsForWavesPerEU: 24
; NamedBarCnt: 0
; Occupancy: 16
; WaveLimiterHint : 0
; COMPUTE_PGM_RSRC2:SCRATCH_EN: 0
; COMPUTE_PGM_RSRC2:USER_SGPR: 2
; COMPUTE_PGM_RSRC2:TRAP_HANDLER: 0
; COMPUTE_PGM_RSRC2:TGID_X_EN: 1
; COMPUTE_PGM_RSRC2:TGID_Y_EN: 0
; COMPUTE_PGM_RSRC2:TGID_Z_EN: 0
; COMPUTE_PGM_RSRC2:TIDIG_COMP_CNT: 0
	.section	.text._ZN9rocsparseL23check_matrix_csr_deviceILj256ELj32E21rocsparse_complex_numIfEllEEvT3_S3_T2_PKT1_PKS4_PKS3_SB_21rocsparse_index_base_22rocsparse_matrix_type_20rocsparse_fill_mode_23rocsparse_storage_mode_P22rocsparse_data_status_,"axG",@progbits,_ZN9rocsparseL23check_matrix_csr_deviceILj256ELj32E21rocsparse_complex_numIfEllEEvT3_S3_T2_PKT1_PKS4_PKS3_SB_21rocsparse_index_base_22rocsparse_matrix_type_20rocsparse_fill_mode_23rocsparse_storage_mode_P22rocsparse_data_status_,comdat
	.globl	_ZN9rocsparseL23check_matrix_csr_deviceILj256ELj32E21rocsparse_complex_numIfEllEEvT3_S3_T2_PKT1_PKS4_PKS3_SB_21rocsparse_index_base_22rocsparse_matrix_type_20rocsparse_fill_mode_23rocsparse_storage_mode_P22rocsparse_data_status_ ; -- Begin function _ZN9rocsparseL23check_matrix_csr_deviceILj256ELj32E21rocsparse_complex_numIfEllEEvT3_S3_T2_PKT1_PKS4_PKS3_SB_21rocsparse_index_base_22rocsparse_matrix_type_20rocsparse_fill_mode_23rocsparse_storage_mode_P22rocsparse_data_status_
	.p2align	8
	.type	_ZN9rocsparseL23check_matrix_csr_deviceILj256ELj32E21rocsparse_complex_numIfEllEEvT3_S3_T2_PKT1_PKS4_PKS3_SB_21rocsparse_index_base_22rocsparse_matrix_type_20rocsparse_fill_mode_23rocsparse_storage_mode_P22rocsparse_data_status_,@function
_ZN9rocsparseL23check_matrix_csr_deviceILj256ELj32E21rocsparse_complex_numIfEllEEvT3_S3_T2_PKT1_PKS4_PKS3_SB_21rocsparse_index_base_22rocsparse_matrix_type_20rocsparse_fill_mode_23rocsparse_storage_mode_P22rocsparse_data_status_: ; @_ZN9rocsparseL23check_matrix_csr_deviceILj256ELj32E21rocsparse_complex_numIfEllEEvT3_S3_T2_PKT1_PKS4_PKS3_SB_21rocsparse_index_base_22rocsparse_matrix_type_20rocsparse_fill_mode_23rocsparse_storage_mode_P22rocsparse_data_status_
; %bb.0:
	s_bfe_u32 s2, ttmp6, 0x4000c
	s_load_b128 s[4:7], s[0:1], 0x0
	s_add_co_i32 s2, s2, 1
	s_and_b32 s3, ttmp6, 15
	s_mul_i32 s2, ttmp9, s2
	s_getreg_b32 s8, hwreg(HW_REG_IB_STS2, 6, 4)
	s_add_co_i32 s3, s3, s2
	s_cmp_eq_u32 s8, 0
	v_mov_b32_e32 v3, 0
	s_cselect_b32 s2, ttmp9, s3
	s_delay_alu instid0(SALU_CYCLE_1) | instskip(SKIP_1) | instid1(VALU_DEP_1)
	v_lshl_or_b32 v1, s2, 8, v0
	s_mov_b32 s2, exec_lo
	v_lshrrev_b32_e32 v2, 5, v1
	s_wait_kmcnt 0x0
	s_delay_alu instid0(VALU_DEP_1)
	v_cmpx_gt_i64_e64 s[4:5], v[2:3]
	s_cbranch_execz .LBB79_31
; %bb.1:
	s_load_b64 s[2:3], s[0:1], 0x20
	v_dual_mov_b32 v20, 3 :: v_dual_lshlrev_b32 v1, 3, v2
	s_wait_kmcnt 0x0
	global_load_b128 v[8:11], v1, s[2:3]
	s_wait_xcnt 0x0
	s_load_b64 s[2:3], s[2:3], 0x0
	s_wait_loadcnt 0x0
	s_wait_kmcnt 0x0
	v_sub_nc_u64_e64 v[4:5], v[10:11], s[2:3]
	v_sub_nc_u64_e64 v[6:7], v[8:9], s[2:3]
	v_cmp_lt_i64_e64 s2, v[10:11], v[8:9]
	s_delay_alu instid0(VALU_DEP_3) | instskip(NEXT) | instid1(VALU_DEP_3)
	v_cmp_gt_i64_e32 vcc_lo, 0, v[4:5]
	v_cmp_lt_i64_e64 s3, -1, v[6:7]
	s_or_b32 s2, vcc_lo, s2
	s_delay_alu instid0(SALU_CYCLE_1) | instskip(SKIP_2) | instid1(SALU_CYCLE_1)
	s_xor_b32 s4, s2, -1
	s_mov_b32 s2, -1
	s_and_b32 s3, s3, s4
	s_and_saveexec_b32 s8, s3
	s_cbranch_execz .LBB79_29
; %bb.2:
	v_dual_mov_b32 v1, 0 :: v_dual_bitop2_b32 v0, 31, v0 bitop3:0x40
	v_mov_b32_e32 v20, 3
	s_mov_b32 s2, 0
	s_mov_b32 s9, exec_lo
	s_delay_alu instid0(VALU_DEP_2) | instskip(NEXT) | instid1(VALU_DEP_1)
	v_add_nc_u64_e32 v[0:1], v[6:7], v[0:1]
	v_cmpx_lt_u64_e64 v[0:1], v[4:5]
	s_cbranch_execz .LBB79_28
; %bb.3:
	s_clause 0x1
	s_load_b64 s[2:3], s[0:1], 0x18
	s_load_b256 s[12:19], s[0:1], 0x28
	v_lshlrev_b64_e32 v[8:9], 3, v[0:1]
	s_mov_b32 s5, 0
	s_delay_alu instid0(VALU_DEP_1) | instskip(SKIP_3) | instid1(VALU_DEP_2)
	v_add_nc_u64_e32 v[10:11], -8, v[8:9]
	s_wait_kmcnt 0x0
	v_add_nc_u64_e32 v[12:13], s[2:3], v[8:9]
	s_cmp_lg_u32 s17, 0
	v_add_nc_u64_e32 v[8:9], s[14:15], v[10:11]
	v_add_nc_u64_e32 v[10:11], s[12:13], v[10:11]
	s_cselect_b32 s10, -1, 0
	s_cmp_lg_u32 s18, 0
	s_mov_b32 s4, s16
	v_add_nc_u64_e32 v[12:13], 4, v[12:13]
	s_cselect_b32 s11, -1, 0
	s_cmp_lg_u32 s19, 0
	s_mov_b32 s13, s5
	s_cselect_b32 s12, -1, 0
                                        ; implicit-def: $sgpr14
                                        ; implicit-def: $sgpr15
                                        ; implicit-def: $sgpr16
	s_branch .LBB79_10
.LBB79_4:                               ;   in Loop: Header=BB79_10 Depth=1
	s_or_b32 exec_lo, exec_lo, s3
	s_delay_alu instid0(SALU_CYCLE_1)
	s_or_not1_b32 s24, s2, exec_lo
	s_or_not1_b32 s2, s21, exec_lo
.LBB79_5:                               ;   in Loop: Header=BB79_10 Depth=1
	s_or_b32 exec_lo, exec_lo, s22
	s_delay_alu instid0(SALU_CYCLE_1)
	s_or_not1_b32 s3, s24, exec_lo
	s_or_not1_b32 s2, s2, exec_lo
.LBB79_6:                               ;   in Loop: Header=BB79_10 Depth=1
	s_or_b32 exec_lo, exec_lo, s20
	s_delay_alu instid0(SALU_CYCLE_1)
	s_or_not1_b32 s20, s3, exec_lo
	s_or_not1_b32 s3, s2, exec_lo
.LBB79_7:                               ;   in Loop: Header=BB79_10 Depth=1
	s_or_b32 exec_lo, exec_lo, s19
	s_delay_alu instid0(SALU_CYCLE_1)
	s_or_not1_b32 s19, s20, exec_lo
	s_or_not1_b32 s2, s3, exec_lo
.LBB79_8:                               ;   in Loop: Header=BB79_10 Depth=1
	s_or_b32 exec_lo, exec_lo, s18
	s_delay_alu instid0(SALU_CYCLE_1)
	s_and_not1_b32 s3, s16, exec_lo
	s_and_b32 s16, s19, exec_lo
	s_and_not1_b32 s15, s15, exec_lo
	s_and_b32 s2, s2, exec_lo
	s_or_b32 s16, s3, s16
	s_or_b32 s15, s15, s2
.LBB79_9:                               ;   in Loop: Header=BB79_10 Depth=1
	s_or_b32 exec_lo, exec_lo, s17
	s_delay_alu instid0(SALU_CYCLE_1) | instskip(NEXT) | instid1(SALU_CYCLE_1)
	s_and_b32 s2, exec_lo, s15
	s_or_b32 s13, s2, s13
	s_and_not1_b32 s2, s14, exec_lo
	s_and_b32 s3, s16, exec_lo
	s_delay_alu instid0(SALU_CYCLE_1)
	s_or_b32 s14, s2, s3
	s_and_not1_b32 exec_lo, exec_lo, s13
	s_cbranch_execz .LBB79_27
.LBB79_10:                              ; =>This Inner Loop Header: Depth=1
	global_load_b64 v[14:15], v[10:11], off offset:8
	v_mov_b32_e32 v20, 4
	s_or_b32 s16, s16, exec_lo
	s_or_b32 s15, s15, exec_lo
	s_wait_loadcnt 0x0
	v_sub_nc_u64_e64 v[16:17], v[14:15], s[4:5]
	s_delay_alu instid0(VALU_DEP_1) | instskip(SKIP_2) | instid1(SALU_CYCLE_1)
	v_cmp_lt_i64_e32 vcc_lo, -1, v[16:17]
	v_cmp_gt_i64_e64 s2, s[6:7], v[16:17]
	s_and_b32 s2, vcc_lo, s2
	s_and_saveexec_b32 s17, s2
	s_cbranch_execz .LBB79_9
; %bb.11:                               ;   in Loop: Header=BB79_10 Depth=1
	v_cmp_le_i64_e64 s21, v[0:1], v[6:7]
	v_mov_b32_e32 v20, 4
	s_mov_b32 s18, exec_lo
	s_mov_b32 s3, s21
	v_cmpx_gt_i64_e64 v[0:1], v[6:7]
	s_cbranch_execz .LBB79_13
; %bb.12:                               ;   in Loop: Header=BB79_10 Depth=1
	global_load_b128 v[18:21], v[8:9], off
	s_wait_loadcnt 0x0
	v_sub_nc_u64_e64 v[22:23], v[18:19], s[4:5]
	v_cmp_ne_u64_e64 s3, v[20:21], v[18:19]
	v_mov_b32_e32 v20, 5
	s_delay_alu instid0(VALU_DEP_3) | instskip(SKIP_2) | instid1(SALU_CYCLE_1)
	v_cmp_lt_i64_e32 vcc_lo, -1, v[22:23]
	v_cmp_gt_i64_e64 s2, s[6:7], v[22:23]
	s_and_b32 s2, vcc_lo, s2
	s_xor_b32 s2, s2, -1
	s_delay_alu instid0(SALU_CYCLE_1) | instskip(SKIP_2) | instid1(SALU_CYCLE_1)
	s_or_b32 s2, s3, s2
	s_and_not1_b32 s3, s21, exec_lo
	s_and_b32 s2, s2, exec_lo
	s_or_b32 s3, s3, s2
.LBB79_13:                              ;   in Loop: Header=BB79_10 Depth=1
	s_or_b32 exec_lo, exec_lo, s18
	s_mov_b32 s2, -1
	s_mov_b32 s19, -1
	s_and_saveexec_b32 s18, s3
	s_cbranch_execz .LBB79_8
; %bb.14:                               ;   in Loop: Header=BB79_10 Depth=1
	global_load_b64 v[18:19], v[12:13], off offset:-4
	v_mov_b32_e32 v20, 1
	s_mov_b32 s3, -1
	s_mov_b32 s20, -1
	s_wait_loadcnt 0x0
	v_cmp_neq_f32_e32 vcc_lo, 0x7f800000, v18
	v_cmp_neq_f32_e64 s2, 0x7f800000, v19
	s_and_b32 s2, vcc_lo, s2
	s_delay_alu instid0(SALU_CYCLE_1)
	s_and_saveexec_b32 s19, s2
	s_cbranch_execz .LBB79_7
; %bb.15:                               ;   in Loop: Header=BB79_10 Depth=1
	v_mov_b32_e32 v20, 2
	s_mov_b32 s2, -1
	s_mov_b32 s20, exec_lo
	v_cmpx_o_f32_e32 v18, v19
	s_cbranch_execz .LBB79_6
; %bb.16:                               ;   in Loop: Header=BB79_10 Depth=1
	s_and_b32 vcc_lo, exec_lo, s10
	s_cbranch_vccz .LBB79_19
; %bb.17:                               ;   in Loop: Header=BB79_10 Depth=1
	s_and_b32 vcc_lo, exec_lo, s11
	s_cbranch_vccz .LBB79_20
; %bb.18:                               ;   in Loop: Header=BB79_10 Depth=1
	v_cmp_ge_i64_e32 vcc_lo, v[16:17], v[2:3]
	s_mov_b32 s3, 7
	s_and_b32 s23, vcc_lo, exec_lo
	s_cbranch_execz .LBB79_21
	s_branch .LBB79_22
.LBB79_19:                              ;   in Loop: Header=BB79_10 Depth=1
	s_mov_b32 s3, 2
	s_mov_b32 s23, -1
	s_branch .LBB79_22
.LBB79_20:                              ;   in Loop: Header=BB79_10 Depth=1
	s_mov_b32 s23, 0
	s_mov_b32 s3, 2
.LBB79_21:                              ;   in Loop: Header=BB79_10 Depth=1
	v_cmp_le_i64_e32 vcc_lo, v[16:17], v[2:3]
	s_and_not1_b32 s22, s23, exec_lo
	s_mov_b32 s3, 7
	s_and_b32 s23, vcc_lo, exec_lo
	s_delay_alu instid0(SALU_CYCLE_1)
	s_or_b32 s23, s22, s23
.LBB79_22:                              ;   in Loop: Header=BB79_10 Depth=1
	v_mov_b32_e32 v20, s3
	s_mov_b32 s24, -1
	s_and_saveexec_b32 s22, s23
	s_cbranch_execz .LBB79_5
; %bb.23:                               ;   in Loop: Header=BB79_10 Depth=1
	v_mov_b32_e32 v20, s3
	s_nor_b32 s2, s12, s21
	s_mov_b32 s21, -1
	s_and_saveexec_b32 s23, s2
	s_cbranch_execz .LBB79_25
; %bb.24:                               ;   in Loop: Header=BB79_10 Depth=1
	global_load_b64 v[16:17], v[10:11], off
	v_mov_b32_e32 v20, 6
	s_wait_loadcnt 0x0
	v_sub_nc_u64_e64 v[18:19], v[16:17], s[4:5]
	v_cmp_gt_i64_e64 s3, v[14:15], v[16:17]
	s_delay_alu instid0(VALU_DEP_2) | instskip(SKIP_2) | instid1(SALU_CYCLE_1)
	v_cmp_lt_i64_e32 vcc_lo, -1, v[18:19]
	v_cmp_gt_i64_e64 s2, s[6:7], v[18:19]
	s_and_b32 s2, vcc_lo, s2
	s_xor_b32 s2, s2, -1
	s_delay_alu instid0(SALU_CYCLE_1) | instskip(NEXT) | instid1(SALU_CYCLE_1)
	s_or_b32 s2, s3, s2
	s_or_not1_b32 s24, s2, exec_lo
.LBB79_25:                              ;   in Loop: Header=BB79_10 Depth=1
	s_or_b32 exec_lo, exec_lo, s23
	s_mov_b32 s2, -1
	s_and_saveexec_b32 s3, s24
	s_cbranch_execz .LBB79_4
; %bb.26:                               ;   in Loop: Header=BB79_10 Depth=1
	v_add_nc_u64_e32 v[0:1], 32, v[0:1]
	v_add_nc_u64_e32 v[8:9], 0x100, v[8:9]
	;; [unrolled: 1-line block ×4, first 2 shown]
	s_xor_b32 s2, exec_lo, -1
	s_delay_alu instid0(VALU_DEP_4)
	v_cmp_ge_i64_e32 vcc_lo, v[0:1], v[4:5]
	s_or_not1_b32 s21, vcc_lo, exec_lo
	s_branch .LBB79_4
.LBB79_27:
	s_or_b32 exec_lo, exec_lo, s13
	s_delay_alu instid0(SALU_CYCLE_1)
	s_and_b32 s2, s14, exec_lo
.LBB79_28:
	s_or_b32 exec_lo, exec_lo, s9
	s_delay_alu instid0(SALU_CYCLE_1)
	s_or_not1_b32 s2, s2, exec_lo
.LBB79_29:
	s_or_b32 exec_lo, exec_lo, s8
	s_delay_alu instid0(SALU_CYCLE_1)
	s_and_b32 exec_lo, exec_lo, s2
	s_cbranch_execz .LBB79_31
; %bb.30:
	s_load_b64 s[0:1], s[0:1], 0x48
	v_mov_b32_e32 v0, 0
	s_wait_kmcnt 0x0
	global_store_b32 v0, v20, s[0:1]
.LBB79_31:
	s_endpgm
	.section	.rodata,"a",@progbits
	.p2align	6, 0x0
	.amdhsa_kernel _ZN9rocsparseL23check_matrix_csr_deviceILj256ELj32E21rocsparse_complex_numIfEllEEvT3_S3_T2_PKT1_PKS4_PKS3_SB_21rocsparse_index_base_22rocsparse_matrix_type_20rocsparse_fill_mode_23rocsparse_storage_mode_P22rocsparse_data_status_
		.amdhsa_group_segment_fixed_size 0
		.amdhsa_private_segment_fixed_size 0
		.amdhsa_kernarg_size 80
		.amdhsa_user_sgpr_count 2
		.amdhsa_user_sgpr_dispatch_ptr 0
		.amdhsa_user_sgpr_queue_ptr 0
		.amdhsa_user_sgpr_kernarg_segment_ptr 1
		.amdhsa_user_sgpr_dispatch_id 0
		.amdhsa_user_sgpr_kernarg_preload_length 0
		.amdhsa_user_sgpr_kernarg_preload_offset 0
		.amdhsa_user_sgpr_private_segment_size 0
		.amdhsa_wavefront_size32 1
		.amdhsa_uses_dynamic_stack 0
		.amdhsa_enable_private_segment 0
		.amdhsa_system_sgpr_workgroup_id_x 1
		.amdhsa_system_sgpr_workgroup_id_y 0
		.amdhsa_system_sgpr_workgroup_id_z 0
		.amdhsa_system_sgpr_workgroup_info 0
		.amdhsa_system_vgpr_workitem_id 0
		.amdhsa_next_free_vgpr 24
		.amdhsa_next_free_sgpr 25
		.amdhsa_named_barrier_count 0
		.amdhsa_reserve_vcc 1
		.amdhsa_float_round_mode_32 0
		.amdhsa_float_round_mode_16_64 0
		.amdhsa_float_denorm_mode_32 3
		.amdhsa_float_denorm_mode_16_64 3
		.amdhsa_fp16_overflow 0
		.amdhsa_memory_ordered 1
		.amdhsa_forward_progress 1
		.amdhsa_inst_pref_size 9
		.amdhsa_round_robin_scheduling 0
		.amdhsa_exception_fp_ieee_invalid_op 0
		.amdhsa_exception_fp_denorm_src 0
		.amdhsa_exception_fp_ieee_div_zero 0
		.amdhsa_exception_fp_ieee_overflow 0
		.amdhsa_exception_fp_ieee_underflow 0
		.amdhsa_exception_fp_ieee_inexact 0
		.amdhsa_exception_int_div_zero 0
	.end_amdhsa_kernel
	.section	.text._ZN9rocsparseL23check_matrix_csr_deviceILj256ELj32E21rocsparse_complex_numIfEllEEvT3_S3_T2_PKT1_PKS4_PKS3_SB_21rocsparse_index_base_22rocsparse_matrix_type_20rocsparse_fill_mode_23rocsparse_storage_mode_P22rocsparse_data_status_,"axG",@progbits,_ZN9rocsparseL23check_matrix_csr_deviceILj256ELj32E21rocsparse_complex_numIfEllEEvT3_S3_T2_PKT1_PKS4_PKS3_SB_21rocsparse_index_base_22rocsparse_matrix_type_20rocsparse_fill_mode_23rocsparse_storage_mode_P22rocsparse_data_status_,comdat
.Lfunc_end79:
	.size	_ZN9rocsparseL23check_matrix_csr_deviceILj256ELj32E21rocsparse_complex_numIfEllEEvT3_S3_T2_PKT1_PKS4_PKS3_SB_21rocsparse_index_base_22rocsparse_matrix_type_20rocsparse_fill_mode_23rocsparse_storage_mode_P22rocsparse_data_status_, .Lfunc_end79-_ZN9rocsparseL23check_matrix_csr_deviceILj256ELj32E21rocsparse_complex_numIfEllEEvT3_S3_T2_PKT1_PKS4_PKS3_SB_21rocsparse_index_base_22rocsparse_matrix_type_20rocsparse_fill_mode_23rocsparse_storage_mode_P22rocsparse_data_status_
                                        ; -- End function
	.set _ZN9rocsparseL23check_matrix_csr_deviceILj256ELj32E21rocsparse_complex_numIfEllEEvT3_S3_T2_PKT1_PKS4_PKS3_SB_21rocsparse_index_base_22rocsparse_matrix_type_20rocsparse_fill_mode_23rocsparse_storage_mode_P22rocsparse_data_status_.num_vgpr, 24
	.set _ZN9rocsparseL23check_matrix_csr_deviceILj256ELj32E21rocsparse_complex_numIfEllEEvT3_S3_T2_PKT1_PKS4_PKS3_SB_21rocsparse_index_base_22rocsparse_matrix_type_20rocsparse_fill_mode_23rocsparse_storage_mode_P22rocsparse_data_status_.num_agpr, 0
	.set _ZN9rocsparseL23check_matrix_csr_deviceILj256ELj32E21rocsparse_complex_numIfEllEEvT3_S3_T2_PKT1_PKS4_PKS3_SB_21rocsparse_index_base_22rocsparse_matrix_type_20rocsparse_fill_mode_23rocsparse_storage_mode_P22rocsparse_data_status_.numbered_sgpr, 25
	.set _ZN9rocsparseL23check_matrix_csr_deviceILj256ELj32E21rocsparse_complex_numIfEllEEvT3_S3_T2_PKT1_PKS4_PKS3_SB_21rocsparse_index_base_22rocsparse_matrix_type_20rocsparse_fill_mode_23rocsparse_storage_mode_P22rocsparse_data_status_.num_named_barrier, 0
	.set _ZN9rocsparseL23check_matrix_csr_deviceILj256ELj32E21rocsparse_complex_numIfEllEEvT3_S3_T2_PKT1_PKS4_PKS3_SB_21rocsparse_index_base_22rocsparse_matrix_type_20rocsparse_fill_mode_23rocsparse_storage_mode_P22rocsparse_data_status_.private_seg_size, 0
	.set _ZN9rocsparseL23check_matrix_csr_deviceILj256ELj32E21rocsparse_complex_numIfEllEEvT3_S3_T2_PKT1_PKS4_PKS3_SB_21rocsparse_index_base_22rocsparse_matrix_type_20rocsparse_fill_mode_23rocsparse_storage_mode_P22rocsparse_data_status_.uses_vcc, 1
	.set _ZN9rocsparseL23check_matrix_csr_deviceILj256ELj32E21rocsparse_complex_numIfEllEEvT3_S3_T2_PKT1_PKS4_PKS3_SB_21rocsparse_index_base_22rocsparse_matrix_type_20rocsparse_fill_mode_23rocsparse_storage_mode_P22rocsparse_data_status_.uses_flat_scratch, 0
	.set _ZN9rocsparseL23check_matrix_csr_deviceILj256ELj32E21rocsparse_complex_numIfEllEEvT3_S3_T2_PKT1_PKS4_PKS3_SB_21rocsparse_index_base_22rocsparse_matrix_type_20rocsparse_fill_mode_23rocsparse_storage_mode_P22rocsparse_data_status_.has_dyn_sized_stack, 0
	.set _ZN9rocsparseL23check_matrix_csr_deviceILj256ELj32E21rocsparse_complex_numIfEllEEvT3_S3_T2_PKT1_PKS4_PKS3_SB_21rocsparse_index_base_22rocsparse_matrix_type_20rocsparse_fill_mode_23rocsparse_storage_mode_P22rocsparse_data_status_.has_recursion, 0
	.set _ZN9rocsparseL23check_matrix_csr_deviceILj256ELj32E21rocsparse_complex_numIfEllEEvT3_S3_T2_PKT1_PKS4_PKS3_SB_21rocsparse_index_base_22rocsparse_matrix_type_20rocsparse_fill_mode_23rocsparse_storage_mode_P22rocsparse_data_status_.has_indirect_call, 0
	.section	.AMDGPU.csdata,"",@progbits
; Kernel info:
; codeLenInByte = 1084
; TotalNumSgprs: 27
; NumVgprs: 24
; ScratchSize: 0
; MemoryBound: 0
; FloatMode: 240
; IeeeMode: 1
; LDSByteSize: 0 bytes/workgroup (compile time only)
; SGPRBlocks: 0
; VGPRBlocks: 1
; NumSGPRsForWavesPerEU: 27
; NumVGPRsForWavesPerEU: 24
; NamedBarCnt: 0
; Occupancy: 16
; WaveLimiterHint : 0
; COMPUTE_PGM_RSRC2:SCRATCH_EN: 0
; COMPUTE_PGM_RSRC2:USER_SGPR: 2
; COMPUTE_PGM_RSRC2:TRAP_HANDLER: 0
; COMPUTE_PGM_RSRC2:TGID_X_EN: 1
; COMPUTE_PGM_RSRC2:TGID_Y_EN: 0
; COMPUTE_PGM_RSRC2:TGID_Z_EN: 0
; COMPUTE_PGM_RSRC2:TIDIG_COMP_CNT: 0
	.section	.text._ZN9rocsparseL23check_matrix_csr_deviceILj256ELj64E21rocsparse_complex_numIfEllEEvT3_S3_T2_PKT1_PKS4_PKS3_SB_21rocsparse_index_base_22rocsparse_matrix_type_20rocsparse_fill_mode_23rocsparse_storage_mode_P22rocsparse_data_status_,"axG",@progbits,_ZN9rocsparseL23check_matrix_csr_deviceILj256ELj64E21rocsparse_complex_numIfEllEEvT3_S3_T2_PKT1_PKS4_PKS3_SB_21rocsparse_index_base_22rocsparse_matrix_type_20rocsparse_fill_mode_23rocsparse_storage_mode_P22rocsparse_data_status_,comdat
	.globl	_ZN9rocsparseL23check_matrix_csr_deviceILj256ELj64E21rocsparse_complex_numIfEllEEvT3_S3_T2_PKT1_PKS4_PKS3_SB_21rocsparse_index_base_22rocsparse_matrix_type_20rocsparse_fill_mode_23rocsparse_storage_mode_P22rocsparse_data_status_ ; -- Begin function _ZN9rocsparseL23check_matrix_csr_deviceILj256ELj64E21rocsparse_complex_numIfEllEEvT3_S3_T2_PKT1_PKS4_PKS3_SB_21rocsparse_index_base_22rocsparse_matrix_type_20rocsparse_fill_mode_23rocsparse_storage_mode_P22rocsparse_data_status_
	.p2align	8
	.type	_ZN9rocsparseL23check_matrix_csr_deviceILj256ELj64E21rocsparse_complex_numIfEllEEvT3_S3_T2_PKT1_PKS4_PKS3_SB_21rocsparse_index_base_22rocsparse_matrix_type_20rocsparse_fill_mode_23rocsparse_storage_mode_P22rocsparse_data_status_,@function
_ZN9rocsparseL23check_matrix_csr_deviceILj256ELj64E21rocsparse_complex_numIfEllEEvT3_S3_T2_PKT1_PKS4_PKS3_SB_21rocsparse_index_base_22rocsparse_matrix_type_20rocsparse_fill_mode_23rocsparse_storage_mode_P22rocsparse_data_status_: ; @_ZN9rocsparseL23check_matrix_csr_deviceILj256ELj64E21rocsparse_complex_numIfEllEEvT3_S3_T2_PKT1_PKS4_PKS3_SB_21rocsparse_index_base_22rocsparse_matrix_type_20rocsparse_fill_mode_23rocsparse_storage_mode_P22rocsparse_data_status_
; %bb.0:
	s_bfe_u32 s2, ttmp6, 0x4000c
	s_load_b128 s[4:7], s[0:1], 0x0
	s_add_co_i32 s2, s2, 1
	s_and_b32 s3, ttmp6, 15
	s_mul_i32 s2, ttmp9, s2
	s_getreg_b32 s8, hwreg(HW_REG_IB_STS2, 6, 4)
	s_add_co_i32 s3, s3, s2
	s_cmp_eq_u32 s8, 0
	v_mov_b32_e32 v3, 0
	s_cselect_b32 s2, ttmp9, s3
	s_delay_alu instid0(SALU_CYCLE_1) | instskip(SKIP_1) | instid1(VALU_DEP_1)
	v_lshl_or_b32 v1, s2, 8, v0
	s_mov_b32 s2, exec_lo
	v_lshrrev_b32_e32 v2, 6, v1
	s_wait_kmcnt 0x0
	s_delay_alu instid0(VALU_DEP_1)
	v_cmpx_gt_i64_e64 s[4:5], v[2:3]
	s_cbranch_execz .LBB80_31
; %bb.1:
	s_load_b64 s[2:3], s[0:1], 0x20
	v_dual_mov_b32 v20, 3 :: v_dual_lshlrev_b32 v1, 3, v2
	s_wait_kmcnt 0x0
	global_load_b128 v[8:11], v1, s[2:3]
	s_wait_xcnt 0x0
	s_load_b64 s[2:3], s[2:3], 0x0
	s_wait_loadcnt 0x0
	s_wait_kmcnt 0x0
	v_sub_nc_u64_e64 v[4:5], v[10:11], s[2:3]
	v_sub_nc_u64_e64 v[6:7], v[8:9], s[2:3]
	v_cmp_lt_i64_e64 s2, v[10:11], v[8:9]
	s_delay_alu instid0(VALU_DEP_3) | instskip(NEXT) | instid1(VALU_DEP_3)
	v_cmp_gt_i64_e32 vcc_lo, 0, v[4:5]
	v_cmp_lt_i64_e64 s3, -1, v[6:7]
	s_or_b32 s2, vcc_lo, s2
	s_delay_alu instid0(SALU_CYCLE_1) | instskip(SKIP_2) | instid1(SALU_CYCLE_1)
	s_xor_b32 s4, s2, -1
	s_mov_b32 s2, -1
	s_and_b32 s3, s3, s4
	s_and_saveexec_b32 s8, s3
	s_cbranch_execz .LBB80_29
; %bb.2:
	v_dual_mov_b32 v1, 0 :: v_dual_bitop2_b32 v0, 63, v0 bitop3:0x40
	v_mov_b32_e32 v20, 3
	s_mov_b32 s2, 0
	s_mov_b32 s9, exec_lo
	s_delay_alu instid0(VALU_DEP_2) | instskip(NEXT) | instid1(VALU_DEP_1)
	v_add_nc_u64_e32 v[0:1], v[6:7], v[0:1]
	v_cmpx_lt_u64_e64 v[0:1], v[4:5]
	s_cbranch_execz .LBB80_28
; %bb.3:
	s_clause 0x1
	s_load_b64 s[2:3], s[0:1], 0x18
	s_load_b256 s[12:19], s[0:1], 0x28
	v_lshlrev_b64_e32 v[8:9], 3, v[0:1]
	s_mov_b32 s5, 0
	s_delay_alu instid0(VALU_DEP_1) | instskip(SKIP_3) | instid1(VALU_DEP_2)
	v_add_nc_u64_e32 v[10:11], -8, v[8:9]
	s_wait_kmcnt 0x0
	v_add_nc_u64_e32 v[12:13], s[2:3], v[8:9]
	s_cmp_lg_u32 s17, 0
	v_add_nc_u64_e32 v[8:9], s[14:15], v[10:11]
	v_add_nc_u64_e32 v[10:11], s[12:13], v[10:11]
	s_cselect_b32 s10, -1, 0
	s_cmp_lg_u32 s18, 0
	s_mov_b32 s4, s16
	v_add_nc_u64_e32 v[12:13], 4, v[12:13]
	s_cselect_b32 s11, -1, 0
	s_cmp_lg_u32 s19, 0
	s_mov_b32 s13, s5
	s_cselect_b32 s12, -1, 0
                                        ; implicit-def: $sgpr14
                                        ; implicit-def: $sgpr15
                                        ; implicit-def: $sgpr16
	s_branch .LBB80_10
.LBB80_4:                               ;   in Loop: Header=BB80_10 Depth=1
	s_or_b32 exec_lo, exec_lo, s3
	s_delay_alu instid0(SALU_CYCLE_1)
	s_or_not1_b32 s24, s2, exec_lo
	s_or_not1_b32 s2, s21, exec_lo
.LBB80_5:                               ;   in Loop: Header=BB80_10 Depth=1
	s_or_b32 exec_lo, exec_lo, s22
	s_delay_alu instid0(SALU_CYCLE_1)
	s_or_not1_b32 s3, s24, exec_lo
	s_or_not1_b32 s2, s2, exec_lo
.LBB80_6:                               ;   in Loop: Header=BB80_10 Depth=1
	s_or_b32 exec_lo, exec_lo, s20
	s_delay_alu instid0(SALU_CYCLE_1)
	s_or_not1_b32 s20, s3, exec_lo
	s_or_not1_b32 s3, s2, exec_lo
.LBB80_7:                               ;   in Loop: Header=BB80_10 Depth=1
	s_or_b32 exec_lo, exec_lo, s19
	s_delay_alu instid0(SALU_CYCLE_1)
	s_or_not1_b32 s19, s20, exec_lo
	s_or_not1_b32 s2, s3, exec_lo
.LBB80_8:                               ;   in Loop: Header=BB80_10 Depth=1
	s_or_b32 exec_lo, exec_lo, s18
	s_delay_alu instid0(SALU_CYCLE_1)
	s_and_not1_b32 s3, s16, exec_lo
	s_and_b32 s16, s19, exec_lo
	s_and_not1_b32 s15, s15, exec_lo
	s_and_b32 s2, s2, exec_lo
	s_or_b32 s16, s3, s16
	s_or_b32 s15, s15, s2
.LBB80_9:                               ;   in Loop: Header=BB80_10 Depth=1
	s_or_b32 exec_lo, exec_lo, s17
	s_delay_alu instid0(SALU_CYCLE_1) | instskip(NEXT) | instid1(SALU_CYCLE_1)
	s_and_b32 s2, exec_lo, s15
	s_or_b32 s13, s2, s13
	s_and_not1_b32 s2, s14, exec_lo
	s_and_b32 s3, s16, exec_lo
	s_delay_alu instid0(SALU_CYCLE_1)
	s_or_b32 s14, s2, s3
	s_and_not1_b32 exec_lo, exec_lo, s13
	s_cbranch_execz .LBB80_27
.LBB80_10:                              ; =>This Inner Loop Header: Depth=1
	global_load_b64 v[14:15], v[10:11], off offset:8
	v_mov_b32_e32 v20, 4
	s_or_b32 s16, s16, exec_lo
	s_or_b32 s15, s15, exec_lo
	s_wait_loadcnt 0x0
	v_sub_nc_u64_e64 v[16:17], v[14:15], s[4:5]
	s_delay_alu instid0(VALU_DEP_1) | instskip(SKIP_2) | instid1(SALU_CYCLE_1)
	v_cmp_lt_i64_e32 vcc_lo, -1, v[16:17]
	v_cmp_gt_i64_e64 s2, s[6:7], v[16:17]
	s_and_b32 s2, vcc_lo, s2
	s_and_saveexec_b32 s17, s2
	s_cbranch_execz .LBB80_9
; %bb.11:                               ;   in Loop: Header=BB80_10 Depth=1
	v_cmp_le_i64_e64 s21, v[0:1], v[6:7]
	v_mov_b32_e32 v20, 4
	s_mov_b32 s18, exec_lo
	s_mov_b32 s3, s21
	v_cmpx_gt_i64_e64 v[0:1], v[6:7]
	s_cbranch_execz .LBB80_13
; %bb.12:                               ;   in Loop: Header=BB80_10 Depth=1
	global_load_b128 v[18:21], v[8:9], off
	s_wait_loadcnt 0x0
	v_sub_nc_u64_e64 v[22:23], v[18:19], s[4:5]
	v_cmp_ne_u64_e64 s3, v[20:21], v[18:19]
	v_mov_b32_e32 v20, 5
	s_delay_alu instid0(VALU_DEP_3) | instskip(SKIP_2) | instid1(SALU_CYCLE_1)
	v_cmp_lt_i64_e32 vcc_lo, -1, v[22:23]
	v_cmp_gt_i64_e64 s2, s[6:7], v[22:23]
	s_and_b32 s2, vcc_lo, s2
	s_xor_b32 s2, s2, -1
	s_delay_alu instid0(SALU_CYCLE_1) | instskip(SKIP_2) | instid1(SALU_CYCLE_1)
	s_or_b32 s2, s3, s2
	s_and_not1_b32 s3, s21, exec_lo
	s_and_b32 s2, s2, exec_lo
	s_or_b32 s3, s3, s2
.LBB80_13:                              ;   in Loop: Header=BB80_10 Depth=1
	s_or_b32 exec_lo, exec_lo, s18
	s_mov_b32 s2, -1
	s_mov_b32 s19, -1
	s_and_saveexec_b32 s18, s3
	s_cbranch_execz .LBB80_8
; %bb.14:                               ;   in Loop: Header=BB80_10 Depth=1
	global_load_b64 v[18:19], v[12:13], off offset:-4
	v_mov_b32_e32 v20, 1
	s_mov_b32 s3, -1
	s_mov_b32 s20, -1
	s_wait_loadcnt 0x0
	v_cmp_neq_f32_e32 vcc_lo, 0x7f800000, v18
	v_cmp_neq_f32_e64 s2, 0x7f800000, v19
	s_and_b32 s2, vcc_lo, s2
	s_delay_alu instid0(SALU_CYCLE_1)
	s_and_saveexec_b32 s19, s2
	s_cbranch_execz .LBB80_7
; %bb.15:                               ;   in Loop: Header=BB80_10 Depth=1
	v_mov_b32_e32 v20, 2
	s_mov_b32 s2, -1
	s_mov_b32 s20, exec_lo
	v_cmpx_o_f32_e32 v18, v19
	s_cbranch_execz .LBB80_6
; %bb.16:                               ;   in Loop: Header=BB80_10 Depth=1
	s_and_b32 vcc_lo, exec_lo, s10
	s_cbranch_vccz .LBB80_19
; %bb.17:                               ;   in Loop: Header=BB80_10 Depth=1
	s_and_b32 vcc_lo, exec_lo, s11
	s_cbranch_vccz .LBB80_20
; %bb.18:                               ;   in Loop: Header=BB80_10 Depth=1
	v_cmp_ge_i64_e32 vcc_lo, v[16:17], v[2:3]
	s_mov_b32 s3, 7
	s_and_b32 s23, vcc_lo, exec_lo
	s_cbranch_execz .LBB80_21
	s_branch .LBB80_22
.LBB80_19:                              ;   in Loop: Header=BB80_10 Depth=1
	s_mov_b32 s3, 2
	s_mov_b32 s23, -1
	s_branch .LBB80_22
.LBB80_20:                              ;   in Loop: Header=BB80_10 Depth=1
	s_mov_b32 s23, 0
	s_mov_b32 s3, 2
.LBB80_21:                              ;   in Loop: Header=BB80_10 Depth=1
	v_cmp_le_i64_e32 vcc_lo, v[16:17], v[2:3]
	s_and_not1_b32 s22, s23, exec_lo
	s_mov_b32 s3, 7
	s_and_b32 s23, vcc_lo, exec_lo
	s_delay_alu instid0(SALU_CYCLE_1)
	s_or_b32 s23, s22, s23
.LBB80_22:                              ;   in Loop: Header=BB80_10 Depth=1
	v_mov_b32_e32 v20, s3
	s_mov_b32 s24, -1
	s_and_saveexec_b32 s22, s23
	s_cbranch_execz .LBB80_5
; %bb.23:                               ;   in Loop: Header=BB80_10 Depth=1
	v_mov_b32_e32 v20, s3
	s_nor_b32 s2, s12, s21
	s_mov_b32 s21, -1
	s_and_saveexec_b32 s23, s2
	s_cbranch_execz .LBB80_25
; %bb.24:                               ;   in Loop: Header=BB80_10 Depth=1
	global_load_b64 v[16:17], v[10:11], off
	v_mov_b32_e32 v20, 6
	s_wait_loadcnt 0x0
	v_sub_nc_u64_e64 v[18:19], v[16:17], s[4:5]
	v_cmp_gt_i64_e64 s3, v[14:15], v[16:17]
	s_delay_alu instid0(VALU_DEP_2) | instskip(SKIP_2) | instid1(SALU_CYCLE_1)
	v_cmp_lt_i64_e32 vcc_lo, -1, v[18:19]
	v_cmp_gt_i64_e64 s2, s[6:7], v[18:19]
	s_and_b32 s2, vcc_lo, s2
	s_xor_b32 s2, s2, -1
	s_delay_alu instid0(SALU_CYCLE_1) | instskip(NEXT) | instid1(SALU_CYCLE_1)
	s_or_b32 s2, s3, s2
	s_or_not1_b32 s24, s2, exec_lo
.LBB80_25:                              ;   in Loop: Header=BB80_10 Depth=1
	s_or_b32 exec_lo, exec_lo, s23
	s_mov_b32 s2, -1
	s_and_saveexec_b32 s3, s24
	s_cbranch_execz .LBB80_4
; %bb.26:                               ;   in Loop: Header=BB80_10 Depth=1
	v_add_nc_u64_e32 v[0:1], 64, v[0:1]
	v_add_nc_u64_e32 v[8:9], 0x200, v[8:9]
	;; [unrolled: 1-line block ×4, first 2 shown]
	s_xor_b32 s2, exec_lo, -1
	s_delay_alu instid0(VALU_DEP_4)
	v_cmp_ge_i64_e32 vcc_lo, v[0:1], v[4:5]
	s_or_not1_b32 s21, vcc_lo, exec_lo
	s_branch .LBB80_4
.LBB80_27:
	s_or_b32 exec_lo, exec_lo, s13
	s_delay_alu instid0(SALU_CYCLE_1)
	s_and_b32 s2, s14, exec_lo
.LBB80_28:
	s_or_b32 exec_lo, exec_lo, s9
	s_delay_alu instid0(SALU_CYCLE_1)
	s_or_not1_b32 s2, s2, exec_lo
.LBB80_29:
	s_or_b32 exec_lo, exec_lo, s8
	s_delay_alu instid0(SALU_CYCLE_1)
	s_and_b32 exec_lo, exec_lo, s2
	s_cbranch_execz .LBB80_31
; %bb.30:
	s_load_b64 s[0:1], s[0:1], 0x48
	v_mov_b32_e32 v0, 0
	s_wait_kmcnt 0x0
	global_store_b32 v0, v20, s[0:1]
.LBB80_31:
	s_endpgm
	.section	.rodata,"a",@progbits
	.p2align	6, 0x0
	.amdhsa_kernel _ZN9rocsparseL23check_matrix_csr_deviceILj256ELj64E21rocsparse_complex_numIfEllEEvT3_S3_T2_PKT1_PKS4_PKS3_SB_21rocsparse_index_base_22rocsparse_matrix_type_20rocsparse_fill_mode_23rocsparse_storage_mode_P22rocsparse_data_status_
		.amdhsa_group_segment_fixed_size 0
		.amdhsa_private_segment_fixed_size 0
		.amdhsa_kernarg_size 80
		.amdhsa_user_sgpr_count 2
		.amdhsa_user_sgpr_dispatch_ptr 0
		.amdhsa_user_sgpr_queue_ptr 0
		.amdhsa_user_sgpr_kernarg_segment_ptr 1
		.amdhsa_user_sgpr_dispatch_id 0
		.amdhsa_user_sgpr_kernarg_preload_length 0
		.amdhsa_user_sgpr_kernarg_preload_offset 0
		.amdhsa_user_sgpr_private_segment_size 0
		.amdhsa_wavefront_size32 1
		.amdhsa_uses_dynamic_stack 0
		.amdhsa_enable_private_segment 0
		.amdhsa_system_sgpr_workgroup_id_x 1
		.amdhsa_system_sgpr_workgroup_id_y 0
		.amdhsa_system_sgpr_workgroup_id_z 0
		.amdhsa_system_sgpr_workgroup_info 0
		.amdhsa_system_vgpr_workitem_id 0
		.amdhsa_next_free_vgpr 24
		.amdhsa_next_free_sgpr 25
		.amdhsa_named_barrier_count 0
		.amdhsa_reserve_vcc 1
		.amdhsa_float_round_mode_32 0
		.amdhsa_float_round_mode_16_64 0
		.amdhsa_float_denorm_mode_32 3
		.amdhsa_float_denorm_mode_16_64 3
		.amdhsa_fp16_overflow 0
		.amdhsa_memory_ordered 1
		.amdhsa_forward_progress 1
		.amdhsa_inst_pref_size 9
		.amdhsa_round_robin_scheduling 0
		.amdhsa_exception_fp_ieee_invalid_op 0
		.amdhsa_exception_fp_denorm_src 0
		.amdhsa_exception_fp_ieee_div_zero 0
		.amdhsa_exception_fp_ieee_overflow 0
		.amdhsa_exception_fp_ieee_underflow 0
		.amdhsa_exception_fp_ieee_inexact 0
		.amdhsa_exception_int_div_zero 0
	.end_amdhsa_kernel
	.section	.text._ZN9rocsparseL23check_matrix_csr_deviceILj256ELj64E21rocsparse_complex_numIfEllEEvT3_S3_T2_PKT1_PKS4_PKS3_SB_21rocsparse_index_base_22rocsparse_matrix_type_20rocsparse_fill_mode_23rocsparse_storage_mode_P22rocsparse_data_status_,"axG",@progbits,_ZN9rocsparseL23check_matrix_csr_deviceILj256ELj64E21rocsparse_complex_numIfEllEEvT3_S3_T2_PKT1_PKS4_PKS3_SB_21rocsparse_index_base_22rocsparse_matrix_type_20rocsparse_fill_mode_23rocsparse_storage_mode_P22rocsparse_data_status_,comdat
.Lfunc_end80:
	.size	_ZN9rocsparseL23check_matrix_csr_deviceILj256ELj64E21rocsparse_complex_numIfEllEEvT3_S3_T2_PKT1_PKS4_PKS3_SB_21rocsparse_index_base_22rocsparse_matrix_type_20rocsparse_fill_mode_23rocsparse_storage_mode_P22rocsparse_data_status_, .Lfunc_end80-_ZN9rocsparseL23check_matrix_csr_deviceILj256ELj64E21rocsparse_complex_numIfEllEEvT3_S3_T2_PKT1_PKS4_PKS3_SB_21rocsparse_index_base_22rocsparse_matrix_type_20rocsparse_fill_mode_23rocsparse_storage_mode_P22rocsparse_data_status_
                                        ; -- End function
	.set _ZN9rocsparseL23check_matrix_csr_deviceILj256ELj64E21rocsparse_complex_numIfEllEEvT3_S3_T2_PKT1_PKS4_PKS3_SB_21rocsparse_index_base_22rocsparse_matrix_type_20rocsparse_fill_mode_23rocsparse_storage_mode_P22rocsparse_data_status_.num_vgpr, 24
	.set _ZN9rocsparseL23check_matrix_csr_deviceILj256ELj64E21rocsparse_complex_numIfEllEEvT3_S3_T2_PKT1_PKS4_PKS3_SB_21rocsparse_index_base_22rocsparse_matrix_type_20rocsparse_fill_mode_23rocsparse_storage_mode_P22rocsparse_data_status_.num_agpr, 0
	.set _ZN9rocsparseL23check_matrix_csr_deviceILj256ELj64E21rocsparse_complex_numIfEllEEvT3_S3_T2_PKT1_PKS4_PKS3_SB_21rocsparse_index_base_22rocsparse_matrix_type_20rocsparse_fill_mode_23rocsparse_storage_mode_P22rocsparse_data_status_.numbered_sgpr, 25
	.set _ZN9rocsparseL23check_matrix_csr_deviceILj256ELj64E21rocsparse_complex_numIfEllEEvT3_S3_T2_PKT1_PKS4_PKS3_SB_21rocsparse_index_base_22rocsparse_matrix_type_20rocsparse_fill_mode_23rocsparse_storage_mode_P22rocsparse_data_status_.num_named_barrier, 0
	.set _ZN9rocsparseL23check_matrix_csr_deviceILj256ELj64E21rocsparse_complex_numIfEllEEvT3_S3_T2_PKT1_PKS4_PKS3_SB_21rocsparse_index_base_22rocsparse_matrix_type_20rocsparse_fill_mode_23rocsparse_storage_mode_P22rocsparse_data_status_.private_seg_size, 0
	.set _ZN9rocsparseL23check_matrix_csr_deviceILj256ELj64E21rocsparse_complex_numIfEllEEvT3_S3_T2_PKT1_PKS4_PKS3_SB_21rocsparse_index_base_22rocsparse_matrix_type_20rocsparse_fill_mode_23rocsparse_storage_mode_P22rocsparse_data_status_.uses_vcc, 1
	.set _ZN9rocsparseL23check_matrix_csr_deviceILj256ELj64E21rocsparse_complex_numIfEllEEvT3_S3_T2_PKT1_PKS4_PKS3_SB_21rocsparse_index_base_22rocsparse_matrix_type_20rocsparse_fill_mode_23rocsparse_storage_mode_P22rocsparse_data_status_.uses_flat_scratch, 0
	.set _ZN9rocsparseL23check_matrix_csr_deviceILj256ELj64E21rocsparse_complex_numIfEllEEvT3_S3_T2_PKT1_PKS4_PKS3_SB_21rocsparse_index_base_22rocsparse_matrix_type_20rocsparse_fill_mode_23rocsparse_storage_mode_P22rocsparse_data_status_.has_dyn_sized_stack, 0
	.set _ZN9rocsparseL23check_matrix_csr_deviceILj256ELj64E21rocsparse_complex_numIfEllEEvT3_S3_T2_PKT1_PKS4_PKS3_SB_21rocsparse_index_base_22rocsparse_matrix_type_20rocsparse_fill_mode_23rocsparse_storage_mode_P22rocsparse_data_status_.has_recursion, 0
	.set _ZN9rocsparseL23check_matrix_csr_deviceILj256ELj64E21rocsparse_complex_numIfEllEEvT3_S3_T2_PKT1_PKS4_PKS3_SB_21rocsparse_index_base_22rocsparse_matrix_type_20rocsparse_fill_mode_23rocsparse_storage_mode_P22rocsparse_data_status_.has_indirect_call, 0
	.section	.AMDGPU.csdata,"",@progbits
; Kernel info:
; codeLenInByte = 1084
; TotalNumSgprs: 27
; NumVgprs: 24
; ScratchSize: 0
; MemoryBound: 0
; FloatMode: 240
; IeeeMode: 1
; LDSByteSize: 0 bytes/workgroup (compile time only)
; SGPRBlocks: 0
; VGPRBlocks: 1
; NumSGPRsForWavesPerEU: 27
; NumVGPRsForWavesPerEU: 24
; NamedBarCnt: 0
; Occupancy: 16
; WaveLimiterHint : 0
; COMPUTE_PGM_RSRC2:SCRATCH_EN: 0
; COMPUTE_PGM_RSRC2:USER_SGPR: 2
; COMPUTE_PGM_RSRC2:TRAP_HANDLER: 0
; COMPUTE_PGM_RSRC2:TGID_X_EN: 1
; COMPUTE_PGM_RSRC2:TGID_Y_EN: 0
; COMPUTE_PGM_RSRC2:TGID_Z_EN: 0
; COMPUTE_PGM_RSRC2:TIDIG_COMP_CNT: 0
	.section	.text._ZN9rocsparseL23check_matrix_csr_deviceILj256ELj128E21rocsparse_complex_numIfEllEEvT3_S3_T2_PKT1_PKS4_PKS3_SB_21rocsparse_index_base_22rocsparse_matrix_type_20rocsparse_fill_mode_23rocsparse_storage_mode_P22rocsparse_data_status_,"axG",@progbits,_ZN9rocsparseL23check_matrix_csr_deviceILj256ELj128E21rocsparse_complex_numIfEllEEvT3_S3_T2_PKT1_PKS4_PKS3_SB_21rocsparse_index_base_22rocsparse_matrix_type_20rocsparse_fill_mode_23rocsparse_storage_mode_P22rocsparse_data_status_,comdat
	.globl	_ZN9rocsparseL23check_matrix_csr_deviceILj256ELj128E21rocsparse_complex_numIfEllEEvT3_S3_T2_PKT1_PKS4_PKS3_SB_21rocsparse_index_base_22rocsparse_matrix_type_20rocsparse_fill_mode_23rocsparse_storage_mode_P22rocsparse_data_status_ ; -- Begin function _ZN9rocsparseL23check_matrix_csr_deviceILj256ELj128E21rocsparse_complex_numIfEllEEvT3_S3_T2_PKT1_PKS4_PKS3_SB_21rocsparse_index_base_22rocsparse_matrix_type_20rocsparse_fill_mode_23rocsparse_storage_mode_P22rocsparse_data_status_
	.p2align	8
	.type	_ZN9rocsparseL23check_matrix_csr_deviceILj256ELj128E21rocsparse_complex_numIfEllEEvT3_S3_T2_PKT1_PKS4_PKS3_SB_21rocsparse_index_base_22rocsparse_matrix_type_20rocsparse_fill_mode_23rocsparse_storage_mode_P22rocsparse_data_status_,@function
_ZN9rocsparseL23check_matrix_csr_deviceILj256ELj128E21rocsparse_complex_numIfEllEEvT3_S3_T2_PKT1_PKS4_PKS3_SB_21rocsparse_index_base_22rocsparse_matrix_type_20rocsparse_fill_mode_23rocsparse_storage_mode_P22rocsparse_data_status_: ; @_ZN9rocsparseL23check_matrix_csr_deviceILj256ELj128E21rocsparse_complex_numIfEllEEvT3_S3_T2_PKT1_PKS4_PKS3_SB_21rocsparse_index_base_22rocsparse_matrix_type_20rocsparse_fill_mode_23rocsparse_storage_mode_P22rocsparse_data_status_
; %bb.0:
	s_bfe_u32 s2, ttmp6, 0x4000c
	s_load_b128 s[4:7], s[0:1], 0x0
	s_add_co_i32 s2, s2, 1
	s_and_b32 s3, ttmp6, 15
	s_mul_i32 s2, ttmp9, s2
	s_getreg_b32 s8, hwreg(HW_REG_IB_STS2, 6, 4)
	s_add_co_i32 s3, s3, s2
	s_cmp_eq_u32 s8, 0
	v_mov_b32_e32 v3, 0
	s_cselect_b32 s2, ttmp9, s3
	s_delay_alu instid0(SALU_CYCLE_1) | instskip(SKIP_1) | instid1(VALU_DEP_1)
	v_lshl_or_b32 v1, s2, 8, v0
	s_mov_b32 s2, exec_lo
	v_lshrrev_b32_e32 v2, 7, v1
	s_wait_kmcnt 0x0
	s_delay_alu instid0(VALU_DEP_1)
	v_cmpx_gt_i64_e64 s[4:5], v[2:3]
	s_cbranch_execz .LBB81_31
; %bb.1:
	s_load_b64 s[2:3], s[0:1], 0x20
	v_dual_mov_b32 v20, 3 :: v_dual_lshlrev_b32 v1, 3, v2
	s_wait_kmcnt 0x0
	global_load_b128 v[8:11], v1, s[2:3]
	s_wait_xcnt 0x0
	s_load_b64 s[2:3], s[2:3], 0x0
	s_wait_loadcnt 0x0
	s_wait_kmcnt 0x0
	v_sub_nc_u64_e64 v[4:5], v[10:11], s[2:3]
	v_sub_nc_u64_e64 v[6:7], v[8:9], s[2:3]
	v_cmp_lt_i64_e64 s2, v[10:11], v[8:9]
	s_delay_alu instid0(VALU_DEP_3) | instskip(NEXT) | instid1(VALU_DEP_3)
	v_cmp_gt_i64_e32 vcc_lo, 0, v[4:5]
	v_cmp_lt_i64_e64 s3, -1, v[6:7]
	s_or_b32 s2, vcc_lo, s2
	s_delay_alu instid0(SALU_CYCLE_1) | instskip(SKIP_2) | instid1(SALU_CYCLE_1)
	s_xor_b32 s4, s2, -1
	s_mov_b32 s2, -1
	s_and_b32 s3, s3, s4
	s_and_saveexec_b32 s8, s3
	s_cbranch_execz .LBB81_29
; %bb.2:
	v_and_b32_e32 v0, 0x7f, v0
	v_dual_mov_b32 v1, 0 :: v_dual_mov_b32 v20, 3
	s_mov_b32 s2, 0
	s_mov_b32 s9, exec_lo
	s_delay_alu instid0(VALU_DEP_1) | instskip(NEXT) | instid1(VALU_DEP_1)
	v_add_nc_u64_e32 v[0:1], v[6:7], v[0:1]
	v_cmpx_lt_u64_e64 v[0:1], v[4:5]
	s_cbranch_execz .LBB81_28
; %bb.3:
	s_clause 0x1
	s_load_b64 s[2:3], s[0:1], 0x18
	s_load_b256 s[12:19], s[0:1], 0x28
	v_lshlrev_b64_e32 v[8:9], 3, v[0:1]
	s_mov_b32 s5, 0
	s_delay_alu instid0(VALU_DEP_1) | instskip(SKIP_3) | instid1(VALU_DEP_2)
	v_add_nc_u64_e32 v[10:11], -8, v[8:9]
	s_wait_kmcnt 0x0
	v_add_nc_u64_e32 v[12:13], s[2:3], v[8:9]
	s_cmp_lg_u32 s17, 0
	v_add_nc_u64_e32 v[8:9], s[14:15], v[10:11]
	v_add_nc_u64_e32 v[10:11], s[12:13], v[10:11]
	s_cselect_b32 s10, -1, 0
	s_cmp_lg_u32 s18, 0
	s_mov_b32 s4, s16
	v_add_nc_u64_e32 v[12:13], 4, v[12:13]
	s_cselect_b32 s11, -1, 0
	s_cmp_lg_u32 s19, 0
	s_mov_b32 s13, s5
	s_cselect_b32 s12, -1, 0
                                        ; implicit-def: $sgpr14
                                        ; implicit-def: $sgpr15
                                        ; implicit-def: $sgpr16
	s_branch .LBB81_10
.LBB81_4:                               ;   in Loop: Header=BB81_10 Depth=1
	s_or_b32 exec_lo, exec_lo, s3
	s_delay_alu instid0(SALU_CYCLE_1)
	s_or_not1_b32 s24, s2, exec_lo
	s_or_not1_b32 s2, s21, exec_lo
.LBB81_5:                               ;   in Loop: Header=BB81_10 Depth=1
	s_or_b32 exec_lo, exec_lo, s22
	s_delay_alu instid0(SALU_CYCLE_1)
	s_or_not1_b32 s3, s24, exec_lo
	s_or_not1_b32 s2, s2, exec_lo
.LBB81_6:                               ;   in Loop: Header=BB81_10 Depth=1
	s_or_b32 exec_lo, exec_lo, s20
	s_delay_alu instid0(SALU_CYCLE_1)
	s_or_not1_b32 s20, s3, exec_lo
	s_or_not1_b32 s3, s2, exec_lo
.LBB81_7:                               ;   in Loop: Header=BB81_10 Depth=1
	s_or_b32 exec_lo, exec_lo, s19
	s_delay_alu instid0(SALU_CYCLE_1)
	s_or_not1_b32 s19, s20, exec_lo
	s_or_not1_b32 s2, s3, exec_lo
.LBB81_8:                               ;   in Loop: Header=BB81_10 Depth=1
	s_or_b32 exec_lo, exec_lo, s18
	s_delay_alu instid0(SALU_CYCLE_1)
	s_and_not1_b32 s3, s16, exec_lo
	s_and_b32 s16, s19, exec_lo
	s_and_not1_b32 s15, s15, exec_lo
	s_and_b32 s2, s2, exec_lo
	s_or_b32 s16, s3, s16
	s_or_b32 s15, s15, s2
.LBB81_9:                               ;   in Loop: Header=BB81_10 Depth=1
	s_or_b32 exec_lo, exec_lo, s17
	s_delay_alu instid0(SALU_CYCLE_1) | instskip(NEXT) | instid1(SALU_CYCLE_1)
	s_and_b32 s2, exec_lo, s15
	s_or_b32 s13, s2, s13
	s_and_not1_b32 s2, s14, exec_lo
	s_and_b32 s3, s16, exec_lo
	s_delay_alu instid0(SALU_CYCLE_1)
	s_or_b32 s14, s2, s3
	s_and_not1_b32 exec_lo, exec_lo, s13
	s_cbranch_execz .LBB81_27
.LBB81_10:                              ; =>This Inner Loop Header: Depth=1
	global_load_b64 v[14:15], v[10:11], off offset:8
	v_mov_b32_e32 v20, 4
	s_or_b32 s16, s16, exec_lo
	s_or_b32 s15, s15, exec_lo
	s_wait_loadcnt 0x0
	v_sub_nc_u64_e64 v[16:17], v[14:15], s[4:5]
	s_delay_alu instid0(VALU_DEP_1) | instskip(SKIP_2) | instid1(SALU_CYCLE_1)
	v_cmp_lt_i64_e32 vcc_lo, -1, v[16:17]
	v_cmp_gt_i64_e64 s2, s[6:7], v[16:17]
	s_and_b32 s2, vcc_lo, s2
	s_and_saveexec_b32 s17, s2
	s_cbranch_execz .LBB81_9
; %bb.11:                               ;   in Loop: Header=BB81_10 Depth=1
	v_cmp_le_i64_e64 s21, v[0:1], v[6:7]
	v_mov_b32_e32 v20, 4
	s_mov_b32 s18, exec_lo
	s_mov_b32 s3, s21
	v_cmpx_gt_i64_e64 v[0:1], v[6:7]
	s_cbranch_execz .LBB81_13
; %bb.12:                               ;   in Loop: Header=BB81_10 Depth=1
	global_load_b128 v[18:21], v[8:9], off
	s_wait_loadcnt 0x0
	v_sub_nc_u64_e64 v[22:23], v[18:19], s[4:5]
	v_cmp_ne_u64_e64 s3, v[20:21], v[18:19]
	v_mov_b32_e32 v20, 5
	s_delay_alu instid0(VALU_DEP_3) | instskip(SKIP_2) | instid1(SALU_CYCLE_1)
	v_cmp_lt_i64_e32 vcc_lo, -1, v[22:23]
	v_cmp_gt_i64_e64 s2, s[6:7], v[22:23]
	s_and_b32 s2, vcc_lo, s2
	s_xor_b32 s2, s2, -1
	s_delay_alu instid0(SALU_CYCLE_1) | instskip(SKIP_2) | instid1(SALU_CYCLE_1)
	s_or_b32 s2, s3, s2
	s_and_not1_b32 s3, s21, exec_lo
	s_and_b32 s2, s2, exec_lo
	s_or_b32 s3, s3, s2
.LBB81_13:                              ;   in Loop: Header=BB81_10 Depth=1
	s_or_b32 exec_lo, exec_lo, s18
	s_mov_b32 s2, -1
	s_mov_b32 s19, -1
	s_and_saveexec_b32 s18, s3
	s_cbranch_execz .LBB81_8
; %bb.14:                               ;   in Loop: Header=BB81_10 Depth=1
	global_load_b64 v[18:19], v[12:13], off offset:-4
	v_mov_b32_e32 v20, 1
	s_mov_b32 s3, -1
	s_mov_b32 s20, -1
	s_wait_loadcnt 0x0
	v_cmp_neq_f32_e32 vcc_lo, 0x7f800000, v18
	v_cmp_neq_f32_e64 s2, 0x7f800000, v19
	s_and_b32 s2, vcc_lo, s2
	s_delay_alu instid0(SALU_CYCLE_1)
	s_and_saveexec_b32 s19, s2
	s_cbranch_execz .LBB81_7
; %bb.15:                               ;   in Loop: Header=BB81_10 Depth=1
	v_mov_b32_e32 v20, 2
	s_mov_b32 s2, -1
	s_mov_b32 s20, exec_lo
	v_cmpx_o_f32_e32 v18, v19
	s_cbranch_execz .LBB81_6
; %bb.16:                               ;   in Loop: Header=BB81_10 Depth=1
	s_and_b32 vcc_lo, exec_lo, s10
	s_cbranch_vccz .LBB81_19
; %bb.17:                               ;   in Loop: Header=BB81_10 Depth=1
	s_and_b32 vcc_lo, exec_lo, s11
	s_cbranch_vccz .LBB81_20
; %bb.18:                               ;   in Loop: Header=BB81_10 Depth=1
	v_cmp_ge_i64_e32 vcc_lo, v[16:17], v[2:3]
	s_mov_b32 s3, 7
	s_and_b32 s23, vcc_lo, exec_lo
	s_cbranch_execz .LBB81_21
	s_branch .LBB81_22
.LBB81_19:                              ;   in Loop: Header=BB81_10 Depth=1
	s_mov_b32 s3, 2
	s_mov_b32 s23, -1
	s_branch .LBB81_22
.LBB81_20:                              ;   in Loop: Header=BB81_10 Depth=1
	s_mov_b32 s23, 0
	s_mov_b32 s3, 2
.LBB81_21:                              ;   in Loop: Header=BB81_10 Depth=1
	v_cmp_le_i64_e32 vcc_lo, v[16:17], v[2:3]
	s_and_not1_b32 s22, s23, exec_lo
	s_mov_b32 s3, 7
	s_and_b32 s23, vcc_lo, exec_lo
	s_delay_alu instid0(SALU_CYCLE_1)
	s_or_b32 s23, s22, s23
.LBB81_22:                              ;   in Loop: Header=BB81_10 Depth=1
	v_mov_b32_e32 v20, s3
	s_mov_b32 s24, -1
	s_and_saveexec_b32 s22, s23
	s_cbranch_execz .LBB81_5
; %bb.23:                               ;   in Loop: Header=BB81_10 Depth=1
	v_mov_b32_e32 v20, s3
	s_nor_b32 s2, s12, s21
	s_mov_b32 s21, -1
	s_and_saveexec_b32 s23, s2
	s_cbranch_execz .LBB81_25
; %bb.24:                               ;   in Loop: Header=BB81_10 Depth=1
	global_load_b64 v[16:17], v[10:11], off
	v_mov_b32_e32 v20, 6
	s_wait_loadcnt 0x0
	v_sub_nc_u64_e64 v[18:19], v[16:17], s[4:5]
	v_cmp_gt_i64_e64 s3, v[14:15], v[16:17]
	s_delay_alu instid0(VALU_DEP_2) | instskip(SKIP_2) | instid1(SALU_CYCLE_1)
	v_cmp_lt_i64_e32 vcc_lo, -1, v[18:19]
	v_cmp_gt_i64_e64 s2, s[6:7], v[18:19]
	s_and_b32 s2, vcc_lo, s2
	s_xor_b32 s2, s2, -1
	s_delay_alu instid0(SALU_CYCLE_1) | instskip(NEXT) | instid1(SALU_CYCLE_1)
	s_or_b32 s2, s3, s2
	s_or_not1_b32 s24, s2, exec_lo
.LBB81_25:                              ;   in Loop: Header=BB81_10 Depth=1
	s_or_b32 exec_lo, exec_lo, s23
	s_mov_b32 s2, -1
	s_and_saveexec_b32 s3, s24
	s_cbranch_execz .LBB81_4
; %bb.26:                               ;   in Loop: Header=BB81_10 Depth=1
	v_add_nc_u64_e32 v[0:1], 0x80, v[0:1]
	v_add_nc_u64_e32 v[8:9], 0x400, v[8:9]
	;; [unrolled: 1-line block ×4, first 2 shown]
	s_xor_b32 s2, exec_lo, -1
	s_delay_alu instid0(VALU_DEP_4)
	v_cmp_ge_i64_e32 vcc_lo, v[0:1], v[4:5]
	s_or_not1_b32 s21, vcc_lo, exec_lo
	s_branch .LBB81_4
.LBB81_27:
	s_or_b32 exec_lo, exec_lo, s13
	s_delay_alu instid0(SALU_CYCLE_1)
	s_and_b32 s2, s14, exec_lo
.LBB81_28:
	s_or_b32 exec_lo, exec_lo, s9
	s_delay_alu instid0(SALU_CYCLE_1)
	s_or_not1_b32 s2, s2, exec_lo
.LBB81_29:
	s_or_b32 exec_lo, exec_lo, s8
	s_delay_alu instid0(SALU_CYCLE_1)
	s_and_b32 exec_lo, exec_lo, s2
	s_cbranch_execz .LBB81_31
; %bb.30:
	s_load_b64 s[0:1], s[0:1], 0x48
	v_mov_b32_e32 v0, 0
	s_wait_kmcnt 0x0
	global_store_b32 v0, v20, s[0:1]
.LBB81_31:
	s_endpgm
	.section	.rodata,"a",@progbits
	.p2align	6, 0x0
	.amdhsa_kernel _ZN9rocsparseL23check_matrix_csr_deviceILj256ELj128E21rocsparse_complex_numIfEllEEvT3_S3_T2_PKT1_PKS4_PKS3_SB_21rocsparse_index_base_22rocsparse_matrix_type_20rocsparse_fill_mode_23rocsparse_storage_mode_P22rocsparse_data_status_
		.amdhsa_group_segment_fixed_size 0
		.amdhsa_private_segment_fixed_size 0
		.amdhsa_kernarg_size 80
		.amdhsa_user_sgpr_count 2
		.amdhsa_user_sgpr_dispatch_ptr 0
		.amdhsa_user_sgpr_queue_ptr 0
		.amdhsa_user_sgpr_kernarg_segment_ptr 1
		.amdhsa_user_sgpr_dispatch_id 0
		.amdhsa_user_sgpr_kernarg_preload_length 0
		.amdhsa_user_sgpr_kernarg_preload_offset 0
		.amdhsa_user_sgpr_private_segment_size 0
		.amdhsa_wavefront_size32 1
		.amdhsa_uses_dynamic_stack 0
		.amdhsa_enable_private_segment 0
		.amdhsa_system_sgpr_workgroup_id_x 1
		.amdhsa_system_sgpr_workgroup_id_y 0
		.amdhsa_system_sgpr_workgroup_id_z 0
		.amdhsa_system_sgpr_workgroup_info 0
		.amdhsa_system_vgpr_workitem_id 0
		.amdhsa_next_free_vgpr 24
		.amdhsa_next_free_sgpr 25
		.amdhsa_named_barrier_count 0
		.amdhsa_reserve_vcc 1
		.amdhsa_float_round_mode_32 0
		.amdhsa_float_round_mode_16_64 0
		.amdhsa_float_denorm_mode_32 3
		.amdhsa_float_denorm_mode_16_64 3
		.amdhsa_fp16_overflow 0
		.amdhsa_memory_ordered 1
		.amdhsa_forward_progress 1
		.amdhsa_inst_pref_size 9
		.amdhsa_round_robin_scheduling 0
		.amdhsa_exception_fp_ieee_invalid_op 0
		.amdhsa_exception_fp_denorm_src 0
		.amdhsa_exception_fp_ieee_div_zero 0
		.amdhsa_exception_fp_ieee_overflow 0
		.amdhsa_exception_fp_ieee_underflow 0
		.amdhsa_exception_fp_ieee_inexact 0
		.amdhsa_exception_int_div_zero 0
	.end_amdhsa_kernel
	.section	.text._ZN9rocsparseL23check_matrix_csr_deviceILj256ELj128E21rocsparse_complex_numIfEllEEvT3_S3_T2_PKT1_PKS4_PKS3_SB_21rocsparse_index_base_22rocsparse_matrix_type_20rocsparse_fill_mode_23rocsparse_storage_mode_P22rocsparse_data_status_,"axG",@progbits,_ZN9rocsparseL23check_matrix_csr_deviceILj256ELj128E21rocsparse_complex_numIfEllEEvT3_S3_T2_PKT1_PKS4_PKS3_SB_21rocsparse_index_base_22rocsparse_matrix_type_20rocsparse_fill_mode_23rocsparse_storage_mode_P22rocsparse_data_status_,comdat
.Lfunc_end81:
	.size	_ZN9rocsparseL23check_matrix_csr_deviceILj256ELj128E21rocsparse_complex_numIfEllEEvT3_S3_T2_PKT1_PKS4_PKS3_SB_21rocsparse_index_base_22rocsparse_matrix_type_20rocsparse_fill_mode_23rocsparse_storage_mode_P22rocsparse_data_status_, .Lfunc_end81-_ZN9rocsparseL23check_matrix_csr_deviceILj256ELj128E21rocsparse_complex_numIfEllEEvT3_S3_T2_PKT1_PKS4_PKS3_SB_21rocsparse_index_base_22rocsparse_matrix_type_20rocsparse_fill_mode_23rocsparse_storage_mode_P22rocsparse_data_status_
                                        ; -- End function
	.set _ZN9rocsparseL23check_matrix_csr_deviceILj256ELj128E21rocsparse_complex_numIfEllEEvT3_S3_T2_PKT1_PKS4_PKS3_SB_21rocsparse_index_base_22rocsparse_matrix_type_20rocsparse_fill_mode_23rocsparse_storage_mode_P22rocsparse_data_status_.num_vgpr, 24
	.set _ZN9rocsparseL23check_matrix_csr_deviceILj256ELj128E21rocsparse_complex_numIfEllEEvT3_S3_T2_PKT1_PKS4_PKS3_SB_21rocsparse_index_base_22rocsparse_matrix_type_20rocsparse_fill_mode_23rocsparse_storage_mode_P22rocsparse_data_status_.num_agpr, 0
	.set _ZN9rocsparseL23check_matrix_csr_deviceILj256ELj128E21rocsparse_complex_numIfEllEEvT3_S3_T2_PKT1_PKS4_PKS3_SB_21rocsparse_index_base_22rocsparse_matrix_type_20rocsparse_fill_mode_23rocsparse_storage_mode_P22rocsparse_data_status_.numbered_sgpr, 25
	.set _ZN9rocsparseL23check_matrix_csr_deviceILj256ELj128E21rocsparse_complex_numIfEllEEvT3_S3_T2_PKT1_PKS4_PKS3_SB_21rocsparse_index_base_22rocsparse_matrix_type_20rocsparse_fill_mode_23rocsparse_storage_mode_P22rocsparse_data_status_.num_named_barrier, 0
	.set _ZN9rocsparseL23check_matrix_csr_deviceILj256ELj128E21rocsparse_complex_numIfEllEEvT3_S3_T2_PKT1_PKS4_PKS3_SB_21rocsparse_index_base_22rocsparse_matrix_type_20rocsparse_fill_mode_23rocsparse_storage_mode_P22rocsparse_data_status_.private_seg_size, 0
	.set _ZN9rocsparseL23check_matrix_csr_deviceILj256ELj128E21rocsparse_complex_numIfEllEEvT3_S3_T2_PKT1_PKS4_PKS3_SB_21rocsparse_index_base_22rocsparse_matrix_type_20rocsparse_fill_mode_23rocsparse_storage_mode_P22rocsparse_data_status_.uses_vcc, 1
	.set _ZN9rocsparseL23check_matrix_csr_deviceILj256ELj128E21rocsparse_complex_numIfEllEEvT3_S3_T2_PKT1_PKS4_PKS3_SB_21rocsparse_index_base_22rocsparse_matrix_type_20rocsparse_fill_mode_23rocsparse_storage_mode_P22rocsparse_data_status_.uses_flat_scratch, 0
	.set _ZN9rocsparseL23check_matrix_csr_deviceILj256ELj128E21rocsparse_complex_numIfEllEEvT3_S3_T2_PKT1_PKS4_PKS3_SB_21rocsparse_index_base_22rocsparse_matrix_type_20rocsparse_fill_mode_23rocsparse_storage_mode_P22rocsparse_data_status_.has_dyn_sized_stack, 0
	.set _ZN9rocsparseL23check_matrix_csr_deviceILj256ELj128E21rocsparse_complex_numIfEllEEvT3_S3_T2_PKT1_PKS4_PKS3_SB_21rocsparse_index_base_22rocsparse_matrix_type_20rocsparse_fill_mode_23rocsparse_storage_mode_P22rocsparse_data_status_.has_recursion, 0
	.set _ZN9rocsparseL23check_matrix_csr_deviceILj256ELj128E21rocsparse_complex_numIfEllEEvT3_S3_T2_PKT1_PKS4_PKS3_SB_21rocsparse_index_base_22rocsparse_matrix_type_20rocsparse_fill_mode_23rocsparse_storage_mode_P22rocsparse_data_status_.has_indirect_call, 0
	.section	.AMDGPU.csdata,"",@progbits
; Kernel info:
; codeLenInByte = 1088
; TotalNumSgprs: 27
; NumVgprs: 24
; ScratchSize: 0
; MemoryBound: 0
; FloatMode: 240
; IeeeMode: 1
; LDSByteSize: 0 bytes/workgroup (compile time only)
; SGPRBlocks: 0
; VGPRBlocks: 1
; NumSGPRsForWavesPerEU: 27
; NumVGPRsForWavesPerEU: 24
; NamedBarCnt: 0
; Occupancy: 16
; WaveLimiterHint : 0
; COMPUTE_PGM_RSRC2:SCRATCH_EN: 0
; COMPUTE_PGM_RSRC2:USER_SGPR: 2
; COMPUTE_PGM_RSRC2:TRAP_HANDLER: 0
; COMPUTE_PGM_RSRC2:TGID_X_EN: 1
; COMPUTE_PGM_RSRC2:TGID_Y_EN: 0
; COMPUTE_PGM_RSRC2:TGID_Z_EN: 0
; COMPUTE_PGM_RSRC2:TIDIG_COMP_CNT: 0
	.section	.text._ZN9rocsparseL23check_matrix_csr_deviceILj256ELj256E21rocsparse_complex_numIfEllEEvT3_S3_T2_PKT1_PKS4_PKS3_SB_21rocsparse_index_base_22rocsparse_matrix_type_20rocsparse_fill_mode_23rocsparse_storage_mode_P22rocsparse_data_status_,"axG",@progbits,_ZN9rocsparseL23check_matrix_csr_deviceILj256ELj256E21rocsparse_complex_numIfEllEEvT3_S3_T2_PKT1_PKS4_PKS3_SB_21rocsparse_index_base_22rocsparse_matrix_type_20rocsparse_fill_mode_23rocsparse_storage_mode_P22rocsparse_data_status_,comdat
	.globl	_ZN9rocsparseL23check_matrix_csr_deviceILj256ELj256E21rocsparse_complex_numIfEllEEvT3_S3_T2_PKT1_PKS4_PKS3_SB_21rocsparse_index_base_22rocsparse_matrix_type_20rocsparse_fill_mode_23rocsparse_storage_mode_P22rocsparse_data_status_ ; -- Begin function _ZN9rocsparseL23check_matrix_csr_deviceILj256ELj256E21rocsparse_complex_numIfEllEEvT3_S3_T2_PKT1_PKS4_PKS3_SB_21rocsparse_index_base_22rocsparse_matrix_type_20rocsparse_fill_mode_23rocsparse_storage_mode_P22rocsparse_data_status_
	.p2align	8
	.type	_ZN9rocsparseL23check_matrix_csr_deviceILj256ELj256E21rocsparse_complex_numIfEllEEvT3_S3_T2_PKT1_PKS4_PKS3_SB_21rocsparse_index_base_22rocsparse_matrix_type_20rocsparse_fill_mode_23rocsparse_storage_mode_P22rocsparse_data_status_,@function
_ZN9rocsparseL23check_matrix_csr_deviceILj256ELj256E21rocsparse_complex_numIfEllEEvT3_S3_T2_PKT1_PKS4_PKS3_SB_21rocsparse_index_base_22rocsparse_matrix_type_20rocsparse_fill_mode_23rocsparse_storage_mode_P22rocsparse_data_status_: ; @_ZN9rocsparseL23check_matrix_csr_deviceILj256ELj256E21rocsparse_complex_numIfEllEEvT3_S3_T2_PKT1_PKS4_PKS3_SB_21rocsparse_index_base_22rocsparse_matrix_type_20rocsparse_fill_mode_23rocsparse_storage_mode_P22rocsparse_data_status_
; %bb.0:
	s_load_b128 s[4:7], s[0:1], 0x0
	s_bfe_u32 s2, ttmp6, 0x4000c
	s_and_b32 s3, ttmp6, 15
	s_add_co_i32 s2, s2, 1
	s_getreg_b32 s8, hwreg(HW_REG_IB_STS2, 6, 4)
	s_mul_i32 s2, ttmp9, s2
	s_mov_b32 s9, 0
	s_add_co_i32 s3, s3, s2
	s_cmp_eq_u32 s8, 0
	s_cselect_b32 s2, ttmp9, s3
	s_mov_b32 s3, exec_lo
	s_and_b32 s8, s2, 0xffffff
	s_wait_kmcnt 0x0
	v_cmpx_gt_i64_e64 s[4:5], s[8:9]
	s_cbranch_execz .LBB82_31
; %bb.1:
	s_load_b64 s[2:3], s[0:1], 0x20
	v_mov_b64_e32 v[2:3], s[8:9]
	s_delay_alu instid0(VALU_DEP_1)
	v_dual_mov_b32 v18, 3 :: v_dual_lshlrev_b32 v1, 3, v2
	s_wait_kmcnt 0x0
	global_load_b128 v[6:9], v1, s[2:3]
	s_wait_xcnt 0x0
	s_load_b64 s[2:3], s[2:3], 0x0
	s_wait_loadcnt 0x0
	s_wait_kmcnt 0x0
	v_sub_nc_u64_e64 v[2:3], v[8:9], s[2:3]
	v_sub_nc_u64_e64 v[4:5], v[6:7], s[2:3]
	v_cmp_lt_i64_e64 s2, v[8:9], v[6:7]
	s_delay_alu instid0(VALU_DEP_3) | instskip(NEXT) | instid1(VALU_DEP_3)
	v_cmp_gt_i64_e32 vcc_lo, 0, v[2:3]
	v_cmp_lt_i64_e64 s3, -1, v[4:5]
	s_or_b32 s2, vcc_lo, s2
	s_delay_alu instid0(SALU_CYCLE_1) | instskip(SKIP_2) | instid1(SALU_CYCLE_1)
	s_xor_b32 s4, s2, -1
	s_mov_b32 s2, -1
	s_and_b32 s3, s3, s4
	s_and_saveexec_b32 s10, s3
	s_cbranch_execz .LBB82_29
; %bb.2:
	v_dual_mov_b32 v1, 0 :: v_dual_mov_b32 v18, 3
	s_mov_b32 s2, 0
	s_mov_b32 s11, exec_lo
	s_delay_alu instid0(VALU_DEP_1) | instskip(NEXT) | instid1(VALU_DEP_1)
	v_add_nc_u64_e32 v[0:1], v[4:5], v[0:1]
	v_cmpx_lt_u64_e64 v[0:1], v[2:3]
	s_cbranch_execz .LBB82_28
; %bb.3:
	s_clause 0x1
	s_load_b64 s[2:3], s[0:1], 0x18
	s_load_b256 s[16:23], s[0:1], 0x28
	v_lshlrev_b64_e32 v[6:7], 3, v[0:1]
	s_mov_b32 s5, 0
	s_delay_alu instid0(SALU_CYCLE_1) | instskip(NEXT) | instid1(VALU_DEP_1)
	s_mov_b32 s15, s5
	v_add_nc_u64_e32 v[8:9], -8, v[6:7]
	s_wait_kmcnt 0x0
	v_add_nc_u64_e32 v[10:11], s[2:3], v[6:7]
	s_cmp_lg_u32 s21, 0
	s_delay_alu instid0(VALU_DEP_2)
	v_add_nc_u64_e32 v[6:7], s[18:19], v[8:9]
	v_add_nc_u64_e32 v[8:9], s[16:17], v[8:9]
	s_cselect_b32 s12, -1, 0
	s_cmp_lg_u32 s22, 0
	s_mov_b32 s4, s20
	v_add_nc_u64_e32 v[10:11], 4, v[10:11]
	s_cselect_b32 s13, -1, 0
	s_cmp_lg_u32 s23, 0
                                        ; implicit-def: $sgpr16
                                        ; implicit-def: $sgpr17
                                        ; implicit-def: $sgpr18
	s_cselect_b32 s14, -1, 0
	s_branch .LBB82_10
.LBB82_4:                               ;   in Loop: Header=BB82_10 Depth=1
	s_or_b32 exec_lo, exec_lo, s3
	s_delay_alu instid0(SALU_CYCLE_1)
	s_or_not1_b32 s26, s2, exec_lo
	s_or_not1_b32 s2, s23, exec_lo
.LBB82_5:                               ;   in Loop: Header=BB82_10 Depth=1
	s_or_b32 exec_lo, exec_lo, s24
	s_delay_alu instid0(SALU_CYCLE_1)
	s_or_not1_b32 s3, s26, exec_lo
	s_or_not1_b32 s2, s2, exec_lo
.LBB82_6:                               ;   in Loop: Header=BB82_10 Depth=1
	s_or_b32 exec_lo, exec_lo, s22
	s_delay_alu instid0(SALU_CYCLE_1)
	s_or_not1_b32 s22, s3, exec_lo
	s_or_not1_b32 s3, s2, exec_lo
.LBB82_7:                               ;   in Loop: Header=BB82_10 Depth=1
	s_or_b32 exec_lo, exec_lo, s21
	s_delay_alu instid0(SALU_CYCLE_1)
	s_or_not1_b32 s21, s22, exec_lo
	s_or_not1_b32 s2, s3, exec_lo
.LBB82_8:                               ;   in Loop: Header=BB82_10 Depth=1
	s_or_b32 exec_lo, exec_lo, s20
	s_delay_alu instid0(SALU_CYCLE_1)
	s_and_not1_b32 s3, s18, exec_lo
	s_and_b32 s18, s21, exec_lo
	s_and_not1_b32 s17, s17, exec_lo
	s_and_b32 s2, s2, exec_lo
	s_or_b32 s18, s3, s18
	s_or_b32 s17, s17, s2
.LBB82_9:                               ;   in Loop: Header=BB82_10 Depth=1
	s_or_b32 exec_lo, exec_lo, s19
	s_delay_alu instid0(SALU_CYCLE_1) | instskip(NEXT) | instid1(SALU_CYCLE_1)
	s_and_b32 s2, exec_lo, s17
	s_or_b32 s15, s2, s15
	s_and_not1_b32 s2, s16, exec_lo
	s_and_b32 s3, s18, exec_lo
	s_delay_alu instid0(SALU_CYCLE_1)
	s_or_b32 s16, s2, s3
	s_and_not1_b32 exec_lo, exec_lo, s15
	s_cbranch_execz .LBB82_27
.LBB82_10:                              ; =>This Inner Loop Header: Depth=1
	global_load_b64 v[12:13], v[8:9], off offset:8
	v_mov_b32_e32 v18, 4
	s_or_b32 s18, s18, exec_lo
	s_or_b32 s17, s17, exec_lo
	s_wait_loadcnt 0x0
	v_sub_nc_u64_e64 v[14:15], v[12:13], s[4:5]
	s_delay_alu instid0(VALU_DEP_1) | instskip(SKIP_2) | instid1(SALU_CYCLE_1)
	v_cmp_lt_i64_e32 vcc_lo, -1, v[14:15]
	v_cmp_gt_i64_e64 s2, s[6:7], v[14:15]
	s_and_b32 s2, vcc_lo, s2
	s_and_saveexec_b32 s19, s2
	s_cbranch_execz .LBB82_9
; %bb.11:                               ;   in Loop: Header=BB82_10 Depth=1
	v_cmp_le_i64_e64 s23, v[0:1], v[4:5]
	v_mov_b32_e32 v18, 4
	s_mov_b32 s20, exec_lo
	s_mov_b32 s3, s23
	v_cmpx_gt_i64_e64 v[0:1], v[4:5]
	s_cbranch_execz .LBB82_13
; %bb.12:                               ;   in Loop: Header=BB82_10 Depth=1
	global_load_b128 v[16:19], v[6:7], off
	s_wait_loadcnt 0x0
	v_sub_nc_u64_e64 v[20:21], v[16:17], s[4:5]
	v_cmp_ne_u64_e64 s3, v[18:19], v[16:17]
	v_mov_b32_e32 v18, 5
	s_delay_alu instid0(VALU_DEP_3) | instskip(SKIP_2) | instid1(SALU_CYCLE_1)
	v_cmp_lt_i64_e32 vcc_lo, -1, v[20:21]
	v_cmp_gt_i64_e64 s2, s[6:7], v[20:21]
	s_and_b32 s2, vcc_lo, s2
	s_xor_b32 s2, s2, -1
	s_delay_alu instid0(SALU_CYCLE_1) | instskip(SKIP_2) | instid1(SALU_CYCLE_1)
	s_or_b32 s2, s3, s2
	s_and_not1_b32 s3, s23, exec_lo
	s_and_b32 s2, s2, exec_lo
	s_or_b32 s3, s3, s2
.LBB82_13:                              ;   in Loop: Header=BB82_10 Depth=1
	s_or_b32 exec_lo, exec_lo, s20
	s_mov_b32 s2, -1
	s_mov_b32 s21, -1
	s_and_saveexec_b32 s20, s3
	s_cbranch_execz .LBB82_8
; %bb.14:                               ;   in Loop: Header=BB82_10 Depth=1
	global_load_b64 v[16:17], v[10:11], off offset:-4
	v_mov_b32_e32 v18, 1
	s_mov_b32 s3, -1
	s_mov_b32 s22, -1
	s_wait_loadcnt 0x0
	v_cmp_neq_f32_e32 vcc_lo, 0x7f800000, v16
	v_cmp_neq_f32_e64 s2, 0x7f800000, v17
	s_and_b32 s2, vcc_lo, s2
	s_delay_alu instid0(SALU_CYCLE_1)
	s_and_saveexec_b32 s21, s2
	s_cbranch_execz .LBB82_7
; %bb.15:                               ;   in Loop: Header=BB82_10 Depth=1
	v_mov_b32_e32 v18, 2
	s_mov_b32 s2, -1
	s_mov_b32 s22, exec_lo
	v_cmpx_o_f32_e32 v16, v17
	s_cbranch_execz .LBB82_6
; %bb.16:                               ;   in Loop: Header=BB82_10 Depth=1
	s_and_b32 vcc_lo, exec_lo, s12
	s_cbranch_vccz .LBB82_19
; %bb.17:                               ;   in Loop: Header=BB82_10 Depth=1
	s_and_b32 vcc_lo, exec_lo, s13
	s_cbranch_vccz .LBB82_20
; %bb.18:                               ;   in Loop: Header=BB82_10 Depth=1
	v_cmp_le_i64_e32 vcc_lo, s[8:9], v[14:15]
	s_mov_b32 s3, 7
	s_and_b32 s25, vcc_lo, exec_lo
	s_cbranch_execz .LBB82_21
	s_branch .LBB82_22
.LBB82_19:                              ;   in Loop: Header=BB82_10 Depth=1
	s_mov_b32 s3, 2
	s_mov_b32 s25, -1
	s_branch .LBB82_22
.LBB82_20:                              ;   in Loop: Header=BB82_10 Depth=1
	s_mov_b32 s25, 0
	s_mov_b32 s3, 2
.LBB82_21:                              ;   in Loop: Header=BB82_10 Depth=1
	v_cmp_ge_i64_e32 vcc_lo, s[8:9], v[14:15]
	s_and_not1_b32 s24, s25, exec_lo
	s_mov_b32 s3, 7
	s_and_b32 s25, vcc_lo, exec_lo
	s_delay_alu instid0(SALU_CYCLE_1)
	s_or_b32 s25, s24, s25
.LBB82_22:                              ;   in Loop: Header=BB82_10 Depth=1
	v_mov_b32_e32 v18, s3
	s_mov_b32 s26, -1
	s_and_saveexec_b32 s24, s25
	s_cbranch_execz .LBB82_5
; %bb.23:                               ;   in Loop: Header=BB82_10 Depth=1
	v_mov_b32_e32 v18, s3
	s_nor_b32 s2, s14, s23
	s_mov_b32 s23, -1
	s_and_saveexec_b32 s25, s2
	s_cbranch_execz .LBB82_25
; %bb.24:                               ;   in Loop: Header=BB82_10 Depth=1
	global_load_b64 v[14:15], v[8:9], off
	v_mov_b32_e32 v18, 6
	s_wait_loadcnt 0x0
	v_sub_nc_u64_e64 v[16:17], v[14:15], s[4:5]
	v_cmp_gt_i64_e64 s3, v[12:13], v[14:15]
	s_delay_alu instid0(VALU_DEP_2) | instskip(SKIP_2) | instid1(SALU_CYCLE_1)
	v_cmp_lt_i64_e32 vcc_lo, -1, v[16:17]
	v_cmp_gt_i64_e64 s2, s[6:7], v[16:17]
	s_and_b32 s2, vcc_lo, s2
	s_xor_b32 s2, s2, -1
	s_delay_alu instid0(SALU_CYCLE_1) | instskip(NEXT) | instid1(SALU_CYCLE_1)
	s_or_b32 s2, s3, s2
	s_or_not1_b32 s26, s2, exec_lo
.LBB82_25:                              ;   in Loop: Header=BB82_10 Depth=1
	s_or_b32 exec_lo, exec_lo, s25
	s_mov_b32 s2, -1
	s_and_saveexec_b32 s3, s26
	s_cbranch_execz .LBB82_4
; %bb.26:                               ;   in Loop: Header=BB82_10 Depth=1
	v_add_nc_u64_e32 v[0:1], 0x100, v[0:1]
	v_add_nc_u64_e32 v[6:7], 0x800, v[6:7]
	;; [unrolled: 1-line block ×4, first 2 shown]
	s_xor_b32 s2, exec_lo, -1
	s_delay_alu instid0(VALU_DEP_4)
	v_cmp_ge_i64_e32 vcc_lo, v[0:1], v[2:3]
	s_or_not1_b32 s23, vcc_lo, exec_lo
	s_branch .LBB82_4
.LBB82_27:
	s_or_b32 exec_lo, exec_lo, s15
	s_delay_alu instid0(SALU_CYCLE_1)
	s_and_b32 s2, s16, exec_lo
.LBB82_28:
	s_or_b32 exec_lo, exec_lo, s11
	s_delay_alu instid0(SALU_CYCLE_1)
	s_or_not1_b32 s2, s2, exec_lo
.LBB82_29:
	s_or_b32 exec_lo, exec_lo, s10
	s_delay_alu instid0(SALU_CYCLE_1)
	s_and_b32 exec_lo, exec_lo, s2
	s_cbranch_execz .LBB82_31
; %bb.30:
	s_load_b64 s[0:1], s[0:1], 0x48
	v_mov_b32_e32 v0, 0
	s_wait_kmcnt 0x0
	global_store_b32 v0, v18, s[0:1]
.LBB82_31:
	s_endpgm
	.section	.rodata,"a",@progbits
	.p2align	6, 0x0
	.amdhsa_kernel _ZN9rocsparseL23check_matrix_csr_deviceILj256ELj256E21rocsparse_complex_numIfEllEEvT3_S3_T2_PKT1_PKS4_PKS3_SB_21rocsparse_index_base_22rocsparse_matrix_type_20rocsparse_fill_mode_23rocsparse_storage_mode_P22rocsparse_data_status_
		.amdhsa_group_segment_fixed_size 0
		.amdhsa_private_segment_fixed_size 0
		.amdhsa_kernarg_size 80
		.amdhsa_user_sgpr_count 2
		.amdhsa_user_sgpr_dispatch_ptr 0
		.amdhsa_user_sgpr_queue_ptr 0
		.amdhsa_user_sgpr_kernarg_segment_ptr 1
		.amdhsa_user_sgpr_dispatch_id 0
		.amdhsa_user_sgpr_kernarg_preload_length 0
		.amdhsa_user_sgpr_kernarg_preload_offset 0
		.amdhsa_user_sgpr_private_segment_size 0
		.amdhsa_wavefront_size32 1
		.amdhsa_uses_dynamic_stack 0
		.amdhsa_enable_private_segment 0
		.amdhsa_system_sgpr_workgroup_id_x 1
		.amdhsa_system_sgpr_workgroup_id_y 0
		.amdhsa_system_sgpr_workgroup_id_z 0
		.amdhsa_system_sgpr_workgroup_info 0
		.amdhsa_system_vgpr_workitem_id 0
		.amdhsa_next_free_vgpr 22
		.amdhsa_next_free_sgpr 27
		.amdhsa_named_barrier_count 0
		.amdhsa_reserve_vcc 1
		.amdhsa_float_round_mode_32 0
		.amdhsa_float_round_mode_16_64 0
		.amdhsa_float_denorm_mode_32 3
		.amdhsa_float_denorm_mode_16_64 3
		.amdhsa_fp16_overflow 0
		.amdhsa_memory_ordered 1
		.amdhsa_forward_progress 1
		.amdhsa_inst_pref_size 9
		.amdhsa_round_robin_scheduling 0
		.amdhsa_exception_fp_ieee_invalid_op 0
		.amdhsa_exception_fp_denorm_src 0
		.amdhsa_exception_fp_ieee_div_zero 0
		.amdhsa_exception_fp_ieee_overflow 0
		.amdhsa_exception_fp_ieee_underflow 0
		.amdhsa_exception_fp_ieee_inexact 0
		.amdhsa_exception_int_div_zero 0
	.end_amdhsa_kernel
	.section	.text._ZN9rocsparseL23check_matrix_csr_deviceILj256ELj256E21rocsparse_complex_numIfEllEEvT3_S3_T2_PKT1_PKS4_PKS3_SB_21rocsparse_index_base_22rocsparse_matrix_type_20rocsparse_fill_mode_23rocsparse_storage_mode_P22rocsparse_data_status_,"axG",@progbits,_ZN9rocsparseL23check_matrix_csr_deviceILj256ELj256E21rocsparse_complex_numIfEllEEvT3_S3_T2_PKT1_PKS4_PKS3_SB_21rocsparse_index_base_22rocsparse_matrix_type_20rocsparse_fill_mode_23rocsparse_storage_mode_P22rocsparse_data_status_,comdat
.Lfunc_end82:
	.size	_ZN9rocsparseL23check_matrix_csr_deviceILj256ELj256E21rocsparse_complex_numIfEllEEvT3_S3_T2_PKT1_PKS4_PKS3_SB_21rocsparse_index_base_22rocsparse_matrix_type_20rocsparse_fill_mode_23rocsparse_storage_mode_P22rocsparse_data_status_, .Lfunc_end82-_ZN9rocsparseL23check_matrix_csr_deviceILj256ELj256E21rocsparse_complex_numIfEllEEvT3_S3_T2_PKT1_PKS4_PKS3_SB_21rocsparse_index_base_22rocsparse_matrix_type_20rocsparse_fill_mode_23rocsparse_storage_mode_P22rocsparse_data_status_
                                        ; -- End function
	.set _ZN9rocsparseL23check_matrix_csr_deviceILj256ELj256E21rocsparse_complex_numIfEllEEvT3_S3_T2_PKT1_PKS4_PKS3_SB_21rocsparse_index_base_22rocsparse_matrix_type_20rocsparse_fill_mode_23rocsparse_storage_mode_P22rocsparse_data_status_.num_vgpr, 22
	.set _ZN9rocsparseL23check_matrix_csr_deviceILj256ELj256E21rocsparse_complex_numIfEllEEvT3_S3_T2_PKT1_PKS4_PKS3_SB_21rocsparse_index_base_22rocsparse_matrix_type_20rocsparse_fill_mode_23rocsparse_storage_mode_P22rocsparse_data_status_.num_agpr, 0
	.set _ZN9rocsparseL23check_matrix_csr_deviceILj256ELj256E21rocsparse_complex_numIfEllEEvT3_S3_T2_PKT1_PKS4_PKS3_SB_21rocsparse_index_base_22rocsparse_matrix_type_20rocsparse_fill_mode_23rocsparse_storage_mode_P22rocsparse_data_status_.numbered_sgpr, 27
	.set _ZN9rocsparseL23check_matrix_csr_deviceILj256ELj256E21rocsparse_complex_numIfEllEEvT3_S3_T2_PKT1_PKS4_PKS3_SB_21rocsparse_index_base_22rocsparse_matrix_type_20rocsparse_fill_mode_23rocsparse_storage_mode_P22rocsparse_data_status_.num_named_barrier, 0
	.set _ZN9rocsparseL23check_matrix_csr_deviceILj256ELj256E21rocsparse_complex_numIfEllEEvT3_S3_T2_PKT1_PKS4_PKS3_SB_21rocsparse_index_base_22rocsparse_matrix_type_20rocsparse_fill_mode_23rocsparse_storage_mode_P22rocsparse_data_status_.private_seg_size, 0
	.set _ZN9rocsparseL23check_matrix_csr_deviceILj256ELj256E21rocsparse_complex_numIfEllEEvT3_S3_T2_PKT1_PKS4_PKS3_SB_21rocsparse_index_base_22rocsparse_matrix_type_20rocsparse_fill_mode_23rocsparse_storage_mode_P22rocsparse_data_status_.uses_vcc, 1
	.set _ZN9rocsparseL23check_matrix_csr_deviceILj256ELj256E21rocsparse_complex_numIfEllEEvT3_S3_T2_PKT1_PKS4_PKS3_SB_21rocsparse_index_base_22rocsparse_matrix_type_20rocsparse_fill_mode_23rocsparse_storage_mode_P22rocsparse_data_status_.uses_flat_scratch, 0
	.set _ZN9rocsparseL23check_matrix_csr_deviceILj256ELj256E21rocsparse_complex_numIfEllEEvT3_S3_T2_PKT1_PKS4_PKS3_SB_21rocsparse_index_base_22rocsparse_matrix_type_20rocsparse_fill_mode_23rocsparse_storage_mode_P22rocsparse_data_status_.has_dyn_sized_stack, 0
	.set _ZN9rocsparseL23check_matrix_csr_deviceILj256ELj256E21rocsparse_complex_numIfEllEEvT3_S3_T2_PKT1_PKS4_PKS3_SB_21rocsparse_index_base_22rocsparse_matrix_type_20rocsparse_fill_mode_23rocsparse_storage_mode_P22rocsparse_data_status_.has_recursion, 0
	.set _ZN9rocsparseL23check_matrix_csr_deviceILj256ELj256E21rocsparse_complex_numIfEllEEvT3_S3_T2_PKT1_PKS4_PKS3_SB_21rocsparse_index_base_22rocsparse_matrix_type_20rocsparse_fill_mode_23rocsparse_storage_mode_P22rocsparse_data_status_.has_indirect_call, 0
	.section	.AMDGPU.csdata,"",@progbits
; Kernel info:
; codeLenInByte = 1080
; TotalNumSgprs: 29
; NumVgprs: 22
; ScratchSize: 0
; MemoryBound: 0
; FloatMode: 240
; IeeeMode: 1
; LDSByteSize: 0 bytes/workgroup (compile time only)
; SGPRBlocks: 0
; VGPRBlocks: 1
; NumSGPRsForWavesPerEU: 29
; NumVGPRsForWavesPerEU: 22
; NamedBarCnt: 0
; Occupancy: 16
; WaveLimiterHint : 0
; COMPUTE_PGM_RSRC2:SCRATCH_EN: 0
; COMPUTE_PGM_RSRC2:USER_SGPR: 2
; COMPUTE_PGM_RSRC2:TRAP_HANDLER: 0
; COMPUTE_PGM_RSRC2:TGID_X_EN: 1
; COMPUTE_PGM_RSRC2:TGID_Y_EN: 0
; COMPUTE_PGM_RSRC2:TGID_Z_EN: 0
; COMPUTE_PGM_RSRC2:TIDIG_COMP_CNT: 0
	.section	.text._ZN9rocsparseL23check_matrix_csr_deviceILj256ELj4E21rocsparse_complex_numIdEllEEvT3_S3_T2_PKT1_PKS4_PKS3_SB_21rocsparse_index_base_22rocsparse_matrix_type_20rocsparse_fill_mode_23rocsparse_storage_mode_P22rocsparse_data_status_,"axG",@progbits,_ZN9rocsparseL23check_matrix_csr_deviceILj256ELj4E21rocsparse_complex_numIdEllEEvT3_S3_T2_PKT1_PKS4_PKS3_SB_21rocsparse_index_base_22rocsparse_matrix_type_20rocsparse_fill_mode_23rocsparse_storage_mode_P22rocsparse_data_status_,comdat
	.globl	_ZN9rocsparseL23check_matrix_csr_deviceILj256ELj4E21rocsparse_complex_numIdEllEEvT3_S3_T2_PKT1_PKS4_PKS3_SB_21rocsparse_index_base_22rocsparse_matrix_type_20rocsparse_fill_mode_23rocsparse_storage_mode_P22rocsparse_data_status_ ; -- Begin function _ZN9rocsparseL23check_matrix_csr_deviceILj256ELj4E21rocsparse_complex_numIdEllEEvT3_S3_T2_PKT1_PKS4_PKS3_SB_21rocsparse_index_base_22rocsparse_matrix_type_20rocsparse_fill_mode_23rocsparse_storage_mode_P22rocsparse_data_status_
	.p2align	8
	.type	_ZN9rocsparseL23check_matrix_csr_deviceILj256ELj4E21rocsparse_complex_numIdEllEEvT3_S3_T2_PKT1_PKS4_PKS3_SB_21rocsparse_index_base_22rocsparse_matrix_type_20rocsparse_fill_mode_23rocsparse_storage_mode_P22rocsparse_data_status_,@function
_ZN9rocsparseL23check_matrix_csr_deviceILj256ELj4E21rocsparse_complex_numIdEllEEvT3_S3_T2_PKT1_PKS4_PKS3_SB_21rocsparse_index_base_22rocsparse_matrix_type_20rocsparse_fill_mode_23rocsparse_storage_mode_P22rocsparse_data_status_: ; @_ZN9rocsparseL23check_matrix_csr_deviceILj256ELj4E21rocsparse_complex_numIdEllEEvT3_S3_T2_PKT1_PKS4_PKS3_SB_21rocsparse_index_base_22rocsparse_matrix_type_20rocsparse_fill_mode_23rocsparse_storage_mode_P22rocsparse_data_status_
; %bb.0:
	s_bfe_u32 s2, ttmp6, 0x4000c
	s_load_b128 s[4:7], s[0:1], 0x0
	s_add_co_i32 s2, s2, 1
	s_and_b32 s3, ttmp6, 15
	s_mul_i32 s2, ttmp9, s2
	s_getreg_b32 s8, hwreg(HW_REG_IB_STS2, 6, 4)
	s_add_co_i32 s3, s3, s2
	s_cmp_eq_u32 s8, 0
	v_mov_b32_e32 v5, 0
	s_cselect_b32 s2, ttmp9, s3
	s_delay_alu instid0(SALU_CYCLE_1) | instskip(SKIP_1) | instid1(VALU_DEP_1)
	v_lshl_or_b32 v1, s2, 8, v0
	s_mov_b32 s2, exec_lo
	v_lshrrev_b32_e32 v4, 2, v1
	s_wait_kmcnt 0x0
	s_delay_alu instid0(VALU_DEP_1)
	v_cmpx_gt_i64_e64 s[4:5], v[4:5]
	s_cbranch_execz .LBB83_31
; %bb.1:
	s_load_b64 s[2:3], s[0:1], 0x20
	v_mov_b32_e32 v22, 3
	s_wait_kmcnt 0x0
	v_lshl_add_u64 v[2:3], v[4:5], 3, s[2:3]
	s_load_b64 s[2:3], s[2:3], 0x0
	global_load_b128 v[10:13], v[2:3], off
	s_wait_loadcnt 0x0
	s_wait_kmcnt 0x0
	v_sub_nc_u64_e64 v[6:7], v[12:13], s[2:3]
	v_sub_nc_u64_e64 v[8:9], v[10:11], s[2:3]
	v_cmp_lt_i64_e64 s2, v[12:13], v[10:11]
	s_delay_alu instid0(VALU_DEP_3) | instskip(NEXT) | instid1(VALU_DEP_3)
	v_cmp_gt_i64_e32 vcc_lo, 0, v[6:7]
	v_cmp_lt_i64_e64 s3, -1, v[8:9]
	s_or_b32 s2, vcc_lo, s2
	s_delay_alu instid0(SALU_CYCLE_1) | instskip(SKIP_2) | instid1(SALU_CYCLE_1)
	s_xor_b32 s4, s2, -1
	s_mov_b32 s2, -1
	s_and_b32 s3, s3, s4
	s_and_saveexec_b32 s8, s3
	s_cbranch_execz .LBB83_29
; %bb.2:
	v_dual_mov_b32 v1, 0 :: v_dual_bitop2_b32 v0, 3, v0 bitop3:0x40
	v_mov_b32_e32 v22, 3
	s_mov_b32 s2, 0
	s_mov_b32 s9, exec_lo
	s_delay_alu instid0(VALU_DEP_2) | instskip(NEXT) | instid1(VALU_DEP_1)
	v_add_nc_u64_e32 v[10:11], v[8:9], v[0:1]
	v_cmpx_lt_u64_e64 v[10:11], v[6:7]
	s_cbranch_execz .LBB83_28
; %bb.3:
	s_clause 0x1
	s_load_b256 s[12:19], s[0:1], 0x28
	s_load_b64 s[2:3], s[0:1], 0x18
	v_lshl_add_u64 v[0:1], v[10:11], 3, -8
	s_mov_b32 s5, 0
	s_wait_kmcnt 0x0
	s_cmp_lg_u32 s17, 0
	v_lshl_add_u64 v[2:3], v[10:11], 4, s[2:3]
	v_add_nc_u64_e32 v[12:13], s[14:15], v[0:1]
	v_add_nc_u64_e32 v[14:15], s[12:13], v[0:1]
	s_cselect_b32 s10, -1, 0
	s_cmp_lg_u32 s18, 0
	v_add_nc_u64_e32 v[16:17], 8, v[2:3]
	s_cselect_b32 s11, -1, 0
	s_cmp_lg_u32 s19, 0
	s_mov_b32 s4, s16
	s_cselect_b32 s12, -1, 0
	s_mov_b32 s13, s5
                                        ; implicit-def: $sgpr14
                                        ; implicit-def: $sgpr15
                                        ; implicit-def: $sgpr16
	s_branch .LBB83_10
.LBB83_4:                               ;   in Loop: Header=BB83_10 Depth=1
	s_or_b32 exec_lo, exec_lo, s3
	s_delay_alu instid0(SALU_CYCLE_1)
	s_or_not1_b32 s24, s2, exec_lo
	s_or_not1_b32 s2, s21, exec_lo
.LBB83_5:                               ;   in Loop: Header=BB83_10 Depth=1
	s_or_b32 exec_lo, exec_lo, s22
	s_delay_alu instid0(SALU_CYCLE_1)
	s_or_not1_b32 s3, s24, exec_lo
	s_or_not1_b32 s2, s2, exec_lo
.LBB83_6:                               ;   in Loop: Header=BB83_10 Depth=1
	s_or_b32 exec_lo, exec_lo, s20
	s_delay_alu instid0(SALU_CYCLE_1)
	s_or_not1_b32 s20, s3, exec_lo
	s_or_not1_b32 s3, s2, exec_lo
.LBB83_7:                               ;   in Loop: Header=BB83_10 Depth=1
	s_or_b32 exec_lo, exec_lo, s19
	s_delay_alu instid0(SALU_CYCLE_1)
	s_or_not1_b32 s19, s20, exec_lo
	s_or_not1_b32 s2, s3, exec_lo
.LBB83_8:                               ;   in Loop: Header=BB83_10 Depth=1
	s_or_b32 exec_lo, exec_lo, s18
	s_delay_alu instid0(SALU_CYCLE_1)
	s_and_not1_b32 s3, s16, exec_lo
	s_and_b32 s16, s19, exec_lo
	s_and_not1_b32 s15, s15, exec_lo
	s_and_b32 s2, s2, exec_lo
	s_or_b32 s16, s3, s16
	s_or_b32 s15, s15, s2
.LBB83_9:                               ;   in Loop: Header=BB83_10 Depth=1
	s_or_b32 exec_lo, exec_lo, s17
	s_delay_alu instid0(SALU_CYCLE_1) | instskip(NEXT) | instid1(SALU_CYCLE_1)
	s_and_b32 s2, exec_lo, s15
	s_or_b32 s13, s2, s13
	s_and_not1_b32 s2, s14, exec_lo
	s_and_b32 s3, s16, exec_lo
	s_delay_alu instid0(SALU_CYCLE_1)
	s_or_b32 s14, s2, s3
	s_and_not1_b32 exec_lo, exec_lo, s13
	s_cbranch_execz .LBB83_27
.LBB83_10:                              ; =>This Inner Loop Header: Depth=1
	global_load_b64 v[18:19], v[14:15], off offset:8
	v_mov_b32_e32 v22, 4
	s_or_b32 s16, s16, exec_lo
	s_or_b32 s15, s15, exec_lo
	s_wait_loadcnt 0x0
	v_sub_nc_u64_e64 v[20:21], v[18:19], s[4:5]
	s_delay_alu instid0(VALU_DEP_1) | instskip(SKIP_2) | instid1(SALU_CYCLE_1)
	v_cmp_lt_i64_e32 vcc_lo, -1, v[20:21]
	v_cmp_gt_i64_e64 s2, s[6:7], v[20:21]
	s_and_b32 s2, vcc_lo, s2
	s_and_saveexec_b32 s17, s2
	s_cbranch_execz .LBB83_9
; %bb.11:                               ;   in Loop: Header=BB83_10 Depth=1
	v_cmp_le_i64_e64 s21, v[10:11], v[8:9]
	v_mov_b32_e32 v22, 4
	s_mov_b32 s18, exec_lo
	s_mov_b32 s3, s21
	v_cmpx_gt_i64_e64 v[10:11], v[8:9]
	s_cbranch_execz .LBB83_13
; %bb.12:                               ;   in Loop: Header=BB83_10 Depth=1
	global_load_b128 v[0:3], v[12:13], off
	s_wait_loadcnt 0x0
	v_sub_nc_u64_e64 v[22:23], v[0:1], s[4:5]
	v_cmp_ne_u64_e64 s3, v[2:3], v[0:1]
	s_delay_alu instid0(VALU_DEP_2) | instskip(SKIP_3) | instid1(SALU_CYCLE_1)
	v_cmp_lt_i64_e32 vcc_lo, -1, v[22:23]
	v_cmp_gt_i64_e64 s2, s[6:7], v[22:23]
	v_mov_b32_e32 v22, 5
	s_and_b32 s2, vcc_lo, s2
	s_xor_b32 s2, s2, -1
	s_delay_alu instid0(SALU_CYCLE_1) | instskip(SKIP_2) | instid1(SALU_CYCLE_1)
	s_or_b32 s2, s3, s2
	s_and_not1_b32 s3, s21, exec_lo
	s_and_b32 s2, s2, exec_lo
	s_or_b32 s3, s3, s2
.LBB83_13:                              ;   in Loop: Header=BB83_10 Depth=1
	s_or_b32 exec_lo, exec_lo, s18
	s_mov_b32 s2, -1
	s_mov_b32 s19, -1
	s_and_saveexec_b32 s18, s3
	s_cbranch_execz .LBB83_8
; %bb.14:                               ;   in Loop: Header=BB83_10 Depth=1
	global_load_b128 v[0:3], v[16:17], off offset:-8
	v_mov_b32_e32 v22, 1
	s_mov_b32 s3, -1
	s_mov_b32 s20, -1
	s_wait_loadcnt 0x0
	v_cmp_neq_f64_e32 vcc_lo, 0x7ff00000, v[0:1]
	v_cmp_neq_f64_e64 s2, 0x7ff00000, v[2:3]
	s_and_b32 s2, vcc_lo, s2
	s_delay_alu instid0(SALU_CYCLE_1)
	s_and_saveexec_b32 s19, s2
	s_cbranch_execz .LBB83_7
; %bb.15:                               ;   in Loop: Header=BB83_10 Depth=1
	v_mov_b32_e32 v22, 2
	s_mov_b32 s2, -1
	s_mov_b32 s20, exec_lo
	v_cmpx_o_f64_e32 v[0:1], v[2:3]
	s_cbranch_execz .LBB83_6
; %bb.16:                               ;   in Loop: Header=BB83_10 Depth=1
	s_and_b32 vcc_lo, exec_lo, s10
	s_cbranch_vccz .LBB83_19
; %bb.17:                               ;   in Loop: Header=BB83_10 Depth=1
	s_and_b32 vcc_lo, exec_lo, s11
	s_cbranch_vccz .LBB83_20
; %bb.18:                               ;   in Loop: Header=BB83_10 Depth=1
	v_cmp_ge_i64_e32 vcc_lo, v[20:21], v[4:5]
	s_mov_b32 s3, 7
	s_and_b32 s23, vcc_lo, exec_lo
	s_cbranch_execz .LBB83_21
	s_branch .LBB83_22
.LBB83_19:                              ;   in Loop: Header=BB83_10 Depth=1
	s_mov_b32 s3, 2
	s_mov_b32 s23, -1
	s_branch .LBB83_22
.LBB83_20:                              ;   in Loop: Header=BB83_10 Depth=1
	s_mov_b32 s23, 0
	s_mov_b32 s3, 2
.LBB83_21:                              ;   in Loop: Header=BB83_10 Depth=1
	v_cmp_le_i64_e32 vcc_lo, v[20:21], v[4:5]
	s_and_not1_b32 s22, s23, exec_lo
	s_mov_b32 s3, 7
	s_and_b32 s23, vcc_lo, exec_lo
	s_delay_alu instid0(SALU_CYCLE_1)
	s_or_b32 s23, s22, s23
.LBB83_22:                              ;   in Loop: Header=BB83_10 Depth=1
	v_mov_b32_e32 v22, s3
	s_mov_b32 s24, -1
	s_and_saveexec_b32 s22, s23
	s_cbranch_execz .LBB83_5
; %bb.23:                               ;   in Loop: Header=BB83_10 Depth=1
	v_mov_b32_e32 v22, s3
	s_nor_b32 s2, s12, s21
	s_mov_b32 s21, -1
	s_and_saveexec_b32 s23, s2
	s_cbranch_execz .LBB83_25
; %bb.24:                               ;   in Loop: Header=BB83_10 Depth=1
	global_load_b64 v[0:1], v[14:15], off
	v_mov_b32_e32 v22, 6
	s_wait_loadcnt 0x0
	v_sub_nc_u64_e64 v[2:3], v[0:1], s[4:5]
	v_cmp_gt_i64_e64 s3, v[18:19], v[0:1]
	s_delay_alu instid0(VALU_DEP_2) | instskip(SKIP_2) | instid1(SALU_CYCLE_1)
	v_cmp_lt_i64_e32 vcc_lo, -1, v[2:3]
	v_cmp_gt_i64_e64 s2, s[6:7], v[2:3]
	s_and_b32 s2, vcc_lo, s2
	s_xor_b32 s2, s2, -1
	s_delay_alu instid0(SALU_CYCLE_1) | instskip(NEXT) | instid1(SALU_CYCLE_1)
	s_or_b32 s2, s3, s2
	s_or_not1_b32 s24, s2, exec_lo
.LBB83_25:                              ;   in Loop: Header=BB83_10 Depth=1
	s_or_b32 exec_lo, exec_lo, s23
	s_mov_b32 s2, -1
	s_and_saveexec_b32 s3, s24
	s_cbranch_execz .LBB83_4
; %bb.26:                               ;   in Loop: Header=BB83_10 Depth=1
	v_add_nc_u64_e32 v[10:11], 4, v[10:11]
	v_add_nc_u64_e32 v[12:13], 32, v[12:13]
	;; [unrolled: 1-line block ×4, first 2 shown]
	s_xor_b32 s2, exec_lo, -1
	s_delay_alu instid0(VALU_DEP_4)
	v_cmp_ge_i64_e32 vcc_lo, v[10:11], v[6:7]
	s_or_not1_b32 s21, vcc_lo, exec_lo
	s_branch .LBB83_4
.LBB83_27:
	s_or_b32 exec_lo, exec_lo, s13
	s_delay_alu instid0(SALU_CYCLE_1)
	s_and_b32 s2, s14, exec_lo
.LBB83_28:
	s_or_b32 exec_lo, exec_lo, s9
	s_delay_alu instid0(SALU_CYCLE_1)
	s_or_not1_b32 s2, s2, exec_lo
.LBB83_29:
	s_or_b32 exec_lo, exec_lo, s8
	s_delay_alu instid0(SALU_CYCLE_1)
	s_and_b32 exec_lo, exec_lo, s2
	s_cbranch_execz .LBB83_31
; %bb.30:
	s_load_b64 s[0:1], s[0:1], 0x48
	v_mov_b32_e32 v0, 0
	s_wait_kmcnt 0x0
	global_store_b32 v0, v22, s[0:1]
.LBB83_31:
	s_endpgm
	.section	.rodata,"a",@progbits
	.p2align	6, 0x0
	.amdhsa_kernel _ZN9rocsparseL23check_matrix_csr_deviceILj256ELj4E21rocsparse_complex_numIdEllEEvT3_S3_T2_PKT1_PKS4_PKS3_SB_21rocsparse_index_base_22rocsparse_matrix_type_20rocsparse_fill_mode_23rocsparse_storage_mode_P22rocsparse_data_status_
		.amdhsa_group_segment_fixed_size 0
		.amdhsa_private_segment_fixed_size 0
		.amdhsa_kernarg_size 80
		.amdhsa_user_sgpr_count 2
		.amdhsa_user_sgpr_dispatch_ptr 0
		.amdhsa_user_sgpr_queue_ptr 0
		.amdhsa_user_sgpr_kernarg_segment_ptr 1
		.amdhsa_user_sgpr_dispatch_id 0
		.amdhsa_user_sgpr_kernarg_preload_length 0
		.amdhsa_user_sgpr_kernarg_preload_offset 0
		.amdhsa_user_sgpr_private_segment_size 0
		.amdhsa_wavefront_size32 1
		.amdhsa_uses_dynamic_stack 0
		.amdhsa_enable_private_segment 0
		.amdhsa_system_sgpr_workgroup_id_x 1
		.amdhsa_system_sgpr_workgroup_id_y 0
		.amdhsa_system_sgpr_workgroup_id_z 0
		.amdhsa_system_sgpr_workgroup_info 0
		.amdhsa_system_vgpr_workitem_id 0
		.amdhsa_next_free_vgpr 24
		.amdhsa_next_free_sgpr 25
		.amdhsa_named_barrier_count 0
		.amdhsa_reserve_vcc 1
		.amdhsa_float_round_mode_32 0
		.amdhsa_float_round_mode_16_64 0
		.amdhsa_float_denorm_mode_32 3
		.amdhsa_float_denorm_mode_16_64 3
		.amdhsa_fp16_overflow 0
		.amdhsa_memory_ordered 1
		.amdhsa_forward_progress 1
		.amdhsa_inst_pref_size 9
		.amdhsa_round_robin_scheduling 0
		.amdhsa_exception_fp_ieee_invalid_op 0
		.amdhsa_exception_fp_denorm_src 0
		.amdhsa_exception_fp_ieee_div_zero 0
		.amdhsa_exception_fp_ieee_overflow 0
		.amdhsa_exception_fp_ieee_underflow 0
		.amdhsa_exception_fp_ieee_inexact 0
		.amdhsa_exception_int_div_zero 0
	.end_amdhsa_kernel
	.section	.text._ZN9rocsparseL23check_matrix_csr_deviceILj256ELj4E21rocsparse_complex_numIdEllEEvT3_S3_T2_PKT1_PKS4_PKS3_SB_21rocsparse_index_base_22rocsparse_matrix_type_20rocsparse_fill_mode_23rocsparse_storage_mode_P22rocsparse_data_status_,"axG",@progbits,_ZN9rocsparseL23check_matrix_csr_deviceILj256ELj4E21rocsparse_complex_numIdEllEEvT3_S3_T2_PKT1_PKS4_PKS3_SB_21rocsparse_index_base_22rocsparse_matrix_type_20rocsparse_fill_mode_23rocsparse_storage_mode_P22rocsparse_data_status_,comdat
.Lfunc_end83:
	.size	_ZN9rocsparseL23check_matrix_csr_deviceILj256ELj4E21rocsparse_complex_numIdEllEEvT3_S3_T2_PKT1_PKS4_PKS3_SB_21rocsparse_index_base_22rocsparse_matrix_type_20rocsparse_fill_mode_23rocsparse_storage_mode_P22rocsparse_data_status_, .Lfunc_end83-_ZN9rocsparseL23check_matrix_csr_deviceILj256ELj4E21rocsparse_complex_numIdEllEEvT3_S3_T2_PKT1_PKS4_PKS3_SB_21rocsparse_index_base_22rocsparse_matrix_type_20rocsparse_fill_mode_23rocsparse_storage_mode_P22rocsparse_data_status_
                                        ; -- End function
	.set _ZN9rocsparseL23check_matrix_csr_deviceILj256ELj4E21rocsparse_complex_numIdEllEEvT3_S3_T2_PKT1_PKS4_PKS3_SB_21rocsparse_index_base_22rocsparse_matrix_type_20rocsparse_fill_mode_23rocsparse_storage_mode_P22rocsparse_data_status_.num_vgpr, 24
	.set _ZN9rocsparseL23check_matrix_csr_deviceILj256ELj4E21rocsparse_complex_numIdEllEEvT3_S3_T2_PKT1_PKS4_PKS3_SB_21rocsparse_index_base_22rocsparse_matrix_type_20rocsparse_fill_mode_23rocsparse_storage_mode_P22rocsparse_data_status_.num_agpr, 0
	.set _ZN9rocsparseL23check_matrix_csr_deviceILj256ELj4E21rocsparse_complex_numIdEllEEvT3_S3_T2_PKT1_PKS4_PKS3_SB_21rocsparse_index_base_22rocsparse_matrix_type_20rocsparse_fill_mode_23rocsparse_storage_mode_P22rocsparse_data_status_.numbered_sgpr, 25
	.set _ZN9rocsparseL23check_matrix_csr_deviceILj256ELj4E21rocsparse_complex_numIdEllEEvT3_S3_T2_PKT1_PKS4_PKS3_SB_21rocsparse_index_base_22rocsparse_matrix_type_20rocsparse_fill_mode_23rocsparse_storage_mode_P22rocsparse_data_status_.num_named_barrier, 0
	.set _ZN9rocsparseL23check_matrix_csr_deviceILj256ELj4E21rocsparse_complex_numIdEllEEvT3_S3_T2_PKT1_PKS4_PKS3_SB_21rocsparse_index_base_22rocsparse_matrix_type_20rocsparse_fill_mode_23rocsparse_storage_mode_P22rocsparse_data_status_.private_seg_size, 0
	.set _ZN9rocsparseL23check_matrix_csr_deviceILj256ELj4E21rocsparse_complex_numIdEllEEvT3_S3_T2_PKT1_PKS4_PKS3_SB_21rocsparse_index_base_22rocsparse_matrix_type_20rocsparse_fill_mode_23rocsparse_storage_mode_P22rocsparse_data_status_.uses_vcc, 1
	.set _ZN9rocsparseL23check_matrix_csr_deviceILj256ELj4E21rocsparse_complex_numIdEllEEvT3_S3_T2_PKT1_PKS4_PKS3_SB_21rocsparse_index_base_22rocsparse_matrix_type_20rocsparse_fill_mode_23rocsparse_storage_mode_P22rocsparse_data_status_.uses_flat_scratch, 0
	.set _ZN9rocsparseL23check_matrix_csr_deviceILj256ELj4E21rocsparse_complex_numIdEllEEvT3_S3_T2_PKT1_PKS4_PKS3_SB_21rocsparse_index_base_22rocsparse_matrix_type_20rocsparse_fill_mode_23rocsparse_storage_mode_P22rocsparse_data_status_.has_dyn_sized_stack, 0
	.set _ZN9rocsparseL23check_matrix_csr_deviceILj256ELj4E21rocsparse_complex_numIdEllEEvT3_S3_T2_PKT1_PKS4_PKS3_SB_21rocsparse_index_base_22rocsparse_matrix_type_20rocsparse_fill_mode_23rocsparse_storage_mode_P22rocsparse_data_status_.has_recursion, 0
	.set _ZN9rocsparseL23check_matrix_csr_deviceILj256ELj4E21rocsparse_complex_numIdEllEEvT3_S3_T2_PKT1_PKS4_PKS3_SB_21rocsparse_index_base_22rocsparse_matrix_type_20rocsparse_fill_mode_23rocsparse_storage_mode_P22rocsparse_data_status_.has_indirect_call, 0
	.section	.AMDGPU.csdata,"",@progbits
; Kernel info:
; codeLenInByte = 1072
; TotalNumSgprs: 27
; NumVgprs: 24
; ScratchSize: 0
; MemoryBound: 0
; FloatMode: 240
; IeeeMode: 1
; LDSByteSize: 0 bytes/workgroup (compile time only)
; SGPRBlocks: 0
; VGPRBlocks: 1
; NumSGPRsForWavesPerEU: 27
; NumVGPRsForWavesPerEU: 24
; NamedBarCnt: 0
; Occupancy: 16
; WaveLimiterHint : 0
; COMPUTE_PGM_RSRC2:SCRATCH_EN: 0
; COMPUTE_PGM_RSRC2:USER_SGPR: 2
; COMPUTE_PGM_RSRC2:TRAP_HANDLER: 0
; COMPUTE_PGM_RSRC2:TGID_X_EN: 1
; COMPUTE_PGM_RSRC2:TGID_Y_EN: 0
; COMPUTE_PGM_RSRC2:TGID_Z_EN: 0
; COMPUTE_PGM_RSRC2:TIDIG_COMP_CNT: 0
	.section	.text._ZN9rocsparseL23check_matrix_csr_deviceILj256ELj8E21rocsparse_complex_numIdEllEEvT3_S3_T2_PKT1_PKS4_PKS3_SB_21rocsparse_index_base_22rocsparse_matrix_type_20rocsparse_fill_mode_23rocsparse_storage_mode_P22rocsparse_data_status_,"axG",@progbits,_ZN9rocsparseL23check_matrix_csr_deviceILj256ELj8E21rocsparse_complex_numIdEllEEvT3_S3_T2_PKT1_PKS4_PKS3_SB_21rocsparse_index_base_22rocsparse_matrix_type_20rocsparse_fill_mode_23rocsparse_storage_mode_P22rocsparse_data_status_,comdat
	.globl	_ZN9rocsparseL23check_matrix_csr_deviceILj256ELj8E21rocsparse_complex_numIdEllEEvT3_S3_T2_PKT1_PKS4_PKS3_SB_21rocsparse_index_base_22rocsparse_matrix_type_20rocsparse_fill_mode_23rocsparse_storage_mode_P22rocsparse_data_status_ ; -- Begin function _ZN9rocsparseL23check_matrix_csr_deviceILj256ELj8E21rocsparse_complex_numIdEllEEvT3_S3_T2_PKT1_PKS4_PKS3_SB_21rocsparse_index_base_22rocsparse_matrix_type_20rocsparse_fill_mode_23rocsparse_storage_mode_P22rocsparse_data_status_
	.p2align	8
	.type	_ZN9rocsparseL23check_matrix_csr_deviceILj256ELj8E21rocsparse_complex_numIdEllEEvT3_S3_T2_PKT1_PKS4_PKS3_SB_21rocsparse_index_base_22rocsparse_matrix_type_20rocsparse_fill_mode_23rocsparse_storage_mode_P22rocsparse_data_status_,@function
_ZN9rocsparseL23check_matrix_csr_deviceILj256ELj8E21rocsparse_complex_numIdEllEEvT3_S3_T2_PKT1_PKS4_PKS3_SB_21rocsparse_index_base_22rocsparse_matrix_type_20rocsparse_fill_mode_23rocsparse_storage_mode_P22rocsparse_data_status_: ; @_ZN9rocsparseL23check_matrix_csr_deviceILj256ELj8E21rocsparse_complex_numIdEllEEvT3_S3_T2_PKT1_PKS4_PKS3_SB_21rocsparse_index_base_22rocsparse_matrix_type_20rocsparse_fill_mode_23rocsparse_storage_mode_P22rocsparse_data_status_
; %bb.0:
	s_bfe_u32 s2, ttmp6, 0x4000c
	s_load_b128 s[4:7], s[0:1], 0x0
	s_add_co_i32 s2, s2, 1
	s_and_b32 s3, ttmp6, 15
	s_mul_i32 s2, ttmp9, s2
	s_getreg_b32 s8, hwreg(HW_REG_IB_STS2, 6, 4)
	s_add_co_i32 s3, s3, s2
	s_cmp_eq_u32 s8, 0
	v_mov_b32_e32 v5, 0
	s_cselect_b32 s2, ttmp9, s3
	s_delay_alu instid0(SALU_CYCLE_1) | instskip(SKIP_1) | instid1(VALU_DEP_1)
	v_lshl_or_b32 v1, s2, 8, v0
	s_mov_b32 s2, exec_lo
	v_lshrrev_b32_e32 v4, 3, v1
	s_wait_kmcnt 0x0
	s_delay_alu instid0(VALU_DEP_1)
	v_cmpx_gt_i64_e64 s[4:5], v[4:5]
	s_cbranch_execz .LBB84_31
; %bb.1:
	s_load_b64 s[2:3], s[0:1], 0x20
	v_dual_mov_b32 v22, 3 :: v_dual_lshlrev_b32 v1, 3, v4
	s_wait_kmcnt 0x0
	global_load_b128 v[10:13], v1, s[2:3]
	s_wait_xcnt 0x0
	s_load_b64 s[2:3], s[2:3], 0x0
	s_wait_loadcnt 0x0
	s_wait_kmcnt 0x0
	v_sub_nc_u64_e64 v[6:7], v[12:13], s[2:3]
	v_sub_nc_u64_e64 v[8:9], v[10:11], s[2:3]
	v_cmp_lt_i64_e64 s2, v[12:13], v[10:11]
	s_delay_alu instid0(VALU_DEP_3) | instskip(NEXT) | instid1(VALU_DEP_3)
	v_cmp_gt_i64_e32 vcc_lo, 0, v[6:7]
	v_cmp_lt_i64_e64 s3, -1, v[8:9]
	s_or_b32 s2, vcc_lo, s2
	s_delay_alu instid0(SALU_CYCLE_1) | instskip(SKIP_2) | instid1(SALU_CYCLE_1)
	s_xor_b32 s4, s2, -1
	s_mov_b32 s2, -1
	s_and_b32 s3, s3, s4
	s_and_saveexec_b32 s8, s3
	s_cbranch_execz .LBB84_29
; %bb.2:
	v_dual_mov_b32 v1, 0 :: v_dual_bitop2_b32 v0, 7, v0 bitop3:0x40
	v_mov_b32_e32 v22, 3
	s_mov_b32 s2, 0
	s_mov_b32 s9, exec_lo
	s_delay_alu instid0(VALU_DEP_2) | instskip(NEXT) | instid1(VALU_DEP_1)
	v_add_nc_u64_e32 v[10:11], v[8:9], v[0:1]
	v_cmpx_lt_u64_e64 v[10:11], v[6:7]
	s_cbranch_execz .LBB84_28
; %bb.3:
	s_clause 0x1
	s_load_b256 s[12:19], s[0:1], 0x28
	s_load_b64 s[2:3], s[0:1], 0x18
	v_lshl_add_u64 v[0:1], v[10:11], 3, -8
	s_mov_b32 s5, 0
	s_wait_kmcnt 0x0
	s_cmp_lg_u32 s17, 0
	v_lshl_add_u64 v[2:3], v[10:11], 4, s[2:3]
	v_add_nc_u64_e32 v[12:13], s[14:15], v[0:1]
	v_add_nc_u64_e32 v[14:15], s[12:13], v[0:1]
	s_cselect_b32 s10, -1, 0
	s_cmp_lg_u32 s18, 0
	v_add_nc_u64_e32 v[16:17], 8, v[2:3]
	s_cselect_b32 s11, -1, 0
	s_cmp_lg_u32 s19, 0
	s_mov_b32 s4, s16
	s_cselect_b32 s12, -1, 0
	s_mov_b32 s13, s5
                                        ; implicit-def: $sgpr14
                                        ; implicit-def: $sgpr15
                                        ; implicit-def: $sgpr16
	s_branch .LBB84_10
.LBB84_4:                               ;   in Loop: Header=BB84_10 Depth=1
	s_or_b32 exec_lo, exec_lo, s3
	s_delay_alu instid0(SALU_CYCLE_1)
	s_or_not1_b32 s24, s2, exec_lo
	s_or_not1_b32 s2, s21, exec_lo
.LBB84_5:                               ;   in Loop: Header=BB84_10 Depth=1
	s_or_b32 exec_lo, exec_lo, s22
	s_delay_alu instid0(SALU_CYCLE_1)
	s_or_not1_b32 s3, s24, exec_lo
	s_or_not1_b32 s2, s2, exec_lo
.LBB84_6:                               ;   in Loop: Header=BB84_10 Depth=1
	s_or_b32 exec_lo, exec_lo, s20
	s_delay_alu instid0(SALU_CYCLE_1)
	s_or_not1_b32 s20, s3, exec_lo
	s_or_not1_b32 s3, s2, exec_lo
.LBB84_7:                               ;   in Loop: Header=BB84_10 Depth=1
	s_or_b32 exec_lo, exec_lo, s19
	s_delay_alu instid0(SALU_CYCLE_1)
	s_or_not1_b32 s19, s20, exec_lo
	s_or_not1_b32 s2, s3, exec_lo
.LBB84_8:                               ;   in Loop: Header=BB84_10 Depth=1
	s_or_b32 exec_lo, exec_lo, s18
	s_delay_alu instid0(SALU_CYCLE_1)
	s_and_not1_b32 s3, s16, exec_lo
	s_and_b32 s16, s19, exec_lo
	s_and_not1_b32 s15, s15, exec_lo
	s_and_b32 s2, s2, exec_lo
	s_or_b32 s16, s3, s16
	s_or_b32 s15, s15, s2
.LBB84_9:                               ;   in Loop: Header=BB84_10 Depth=1
	s_or_b32 exec_lo, exec_lo, s17
	s_delay_alu instid0(SALU_CYCLE_1) | instskip(NEXT) | instid1(SALU_CYCLE_1)
	s_and_b32 s2, exec_lo, s15
	s_or_b32 s13, s2, s13
	s_and_not1_b32 s2, s14, exec_lo
	s_and_b32 s3, s16, exec_lo
	s_delay_alu instid0(SALU_CYCLE_1)
	s_or_b32 s14, s2, s3
	s_and_not1_b32 exec_lo, exec_lo, s13
	s_cbranch_execz .LBB84_27
.LBB84_10:                              ; =>This Inner Loop Header: Depth=1
	global_load_b64 v[18:19], v[14:15], off offset:8
	v_mov_b32_e32 v22, 4
	s_or_b32 s16, s16, exec_lo
	s_or_b32 s15, s15, exec_lo
	s_wait_loadcnt 0x0
	v_sub_nc_u64_e64 v[20:21], v[18:19], s[4:5]
	s_delay_alu instid0(VALU_DEP_1) | instskip(SKIP_2) | instid1(SALU_CYCLE_1)
	v_cmp_lt_i64_e32 vcc_lo, -1, v[20:21]
	v_cmp_gt_i64_e64 s2, s[6:7], v[20:21]
	s_and_b32 s2, vcc_lo, s2
	s_and_saveexec_b32 s17, s2
	s_cbranch_execz .LBB84_9
; %bb.11:                               ;   in Loop: Header=BB84_10 Depth=1
	v_cmp_le_i64_e64 s21, v[10:11], v[8:9]
	v_mov_b32_e32 v22, 4
	s_mov_b32 s18, exec_lo
	s_mov_b32 s3, s21
	v_cmpx_gt_i64_e64 v[10:11], v[8:9]
	s_cbranch_execz .LBB84_13
; %bb.12:                               ;   in Loop: Header=BB84_10 Depth=1
	global_load_b128 v[0:3], v[12:13], off
	s_wait_loadcnt 0x0
	v_sub_nc_u64_e64 v[22:23], v[0:1], s[4:5]
	v_cmp_ne_u64_e64 s3, v[2:3], v[0:1]
	s_delay_alu instid0(VALU_DEP_2) | instskip(SKIP_3) | instid1(SALU_CYCLE_1)
	v_cmp_lt_i64_e32 vcc_lo, -1, v[22:23]
	v_cmp_gt_i64_e64 s2, s[6:7], v[22:23]
	v_mov_b32_e32 v22, 5
	s_and_b32 s2, vcc_lo, s2
	s_xor_b32 s2, s2, -1
	s_delay_alu instid0(SALU_CYCLE_1) | instskip(SKIP_2) | instid1(SALU_CYCLE_1)
	s_or_b32 s2, s3, s2
	s_and_not1_b32 s3, s21, exec_lo
	s_and_b32 s2, s2, exec_lo
	s_or_b32 s3, s3, s2
.LBB84_13:                              ;   in Loop: Header=BB84_10 Depth=1
	s_or_b32 exec_lo, exec_lo, s18
	s_mov_b32 s2, -1
	s_mov_b32 s19, -1
	s_and_saveexec_b32 s18, s3
	s_cbranch_execz .LBB84_8
; %bb.14:                               ;   in Loop: Header=BB84_10 Depth=1
	global_load_b128 v[0:3], v[16:17], off offset:-8
	v_mov_b32_e32 v22, 1
	s_mov_b32 s3, -1
	s_mov_b32 s20, -1
	s_wait_loadcnt 0x0
	v_cmp_neq_f64_e32 vcc_lo, 0x7ff00000, v[0:1]
	v_cmp_neq_f64_e64 s2, 0x7ff00000, v[2:3]
	s_and_b32 s2, vcc_lo, s2
	s_delay_alu instid0(SALU_CYCLE_1)
	s_and_saveexec_b32 s19, s2
	s_cbranch_execz .LBB84_7
; %bb.15:                               ;   in Loop: Header=BB84_10 Depth=1
	v_mov_b32_e32 v22, 2
	s_mov_b32 s2, -1
	s_mov_b32 s20, exec_lo
	v_cmpx_o_f64_e32 v[0:1], v[2:3]
	s_cbranch_execz .LBB84_6
; %bb.16:                               ;   in Loop: Header=BB84_10 Depth=1
	s_and_b32 vcc_lo, exec_lo, s10
	s_cbranch_vccz .LBB84_19
; %bb.17:                               ;   in Loop: Header=BB84_10 Depth=1
	s_and_b32 vcc_lo, exec_lo, s11
	s_cbranch_vccz .LBB84_20
; %bb.18:                               ;   in Loop: Header=BB84_10 Depth=1
	v_cmp_ge_i64_e32 vcc_lo, v[20:21], v[4:5]
	s_mov_b32 s3, 7
	s_and_b32 s23, vcc_lo, exec_lo
	s_cbranch_execz .LBB84_21
	s_branch .LBB84_22
.LBB84_19:                              ;   in Loop: Header=BB84_10 Depth=1
	s_mov_b32 s3, 2
	s_mov_b32 s23, -1
	s_branch .LBB84_22
.LBB84_20:                              ;   in Loop: Header=BB84_10 Depth=1
	s_mov_b32 s23, 0
	s_mov_b32 s3, 2
.LBB84_21:                              ;   in Loop: Header=BB84_10 Depth=1
	v_cmp_le_i64_e32 vcc_lo, v[20:21], v[4:5]
	s_and_not1_b32 s22, s23, exec_lo
	s_mov_b32 s3, 7
	s_and_b32 s23, vcc_lo, exec_lo
	s_delay_alu instid0(SALU_CYCLE_1)
	s_or_b32 s23, s22, s23
.LBB84_22:                              ;   in Loop: Header=BB84_10 Depth=1
	v_mov_b32_e32 v22, s3
	s_mov_b32 s24, -1
	s_and_saveexec_b32 s22, s23
	s_cbranch_execz .LBB84_5
; %bb.23:                               ;   in Loop: Header=BB84_10 Depth=1
	v_mov_b32_e32 v22, s3
	s_nor_b32 s2, s12, s21
	s_mov_b32 s21, -1
	s_and_saveexec_b32 s23, s2
	s_cbranch_execz .LBB84_25
; %bb.24:                               ;   in Loop: Header=BB84_10 Depth=1
	global_load_b64 v[0:1], v[14:15], off
	v_mov_b32_e32 v22, 6
	s_wait_loadcnt 0x0
	v_sub_nc_u64_e64 v[2:3], v[0:1], s[4:5]
	v_cmp_gt_i64_e64 s3, v[18:19], v[0:1]
	s_delay_alu instid0(VALU_DEP_2) | instskip(SKIP_2) | instid1(SALU_CYCLE_1)
	v_cmp_lt_i64_e32 vcc_lo, -1, v[2:3]
	v_cmp_gt_i64_e64 s2, s[6:7], v[2:3]
	s_and_b32 s2, vcc_lo, s2
	s_xor_b32 s2, s2, -1
	s_delay_alu instid0(SALU_CYCLE_1) | instskip(NEXT) | instid1(SALU_CYCLE_1)
	s_or_b32 s2, s3, s2
	s_or_not1_b32 s24, s2, exec_lo
.LBB84_25:                              ;   in Loop: Header=BB84_10 Depth=1
	s_or_b32 exec_lo, exec_lo, s23
	s_mov_b32 s2, -1
	s_and_saveexec_b32 s3, s24
	s_cbranch_execz .LBB84_4
; %bb.26:                               ;   in Loop: Header=BB84_10 Depth=1
	v_add_nc_u64_e32 v[10:11], 8, v[10:11]
	v_add_nc_u64_e32 v[12:13], 64, v[12:13]
	;; [unrolled: 1-line block ×4, first 2 shown]
	s_xor_b32 s2, exec_lo, -1
	s_delay_alu instid0(VALU_DEP_4)
	v_cmp_ge_i64_e32 vcc_lo, v[10:11], v[6:7]
	s_or_not1_b32 s21, vcc_lo, exec_lo
	s_branch .LBB84_4
.LBB84_27:
	s_or_b32 exec_lo, exec_lo, s13
	s_delay_alu instid0(SALU_CYCLE_1)
	s_and_b32 s2, s14, exec_lo
.LBB84_28:
	s_or_b32 exec_lo, exec_lo, s9
	s_delay_alu instid0(SALU_CYCLE_1)
	s_or_not1_b32 s2, s2, exec_lo
.LBB84_29:
	s_or_b32 exec_lo, exec_lo, s8
	s_delay_alu instid0(SALU_CYCLE_1)
	s_and_b32 exec_lo, exec_lo, s2
	s_cbranch_execz .LBB84_31
; %bb.30:
	s_load_b64 s[0:1], s[0:1], 0x48
	v_mov_b32_e32 v0, 0
	s_wait_kmcnt 0x0
	global_store_b32 v0, v22, s[0:1]
.LBB84_31:
	s_endpgm
	.section	.rodata,"a",@progbits
	.p2align	6, 0x0
	.amdhsa_kernel _ZN9rocsparseL23check_matrix_csr_deviceILj256ELj8E21rocsparse_complex_numIdEllEEvT3_S3_T2_PKT1_PKS4_PKS3_SB_21rocsparse_index_base_22rocsparse_matrix_type_20rocsparse_fill_mode_23rocsparse_storage_mode_P22rocsparse_data_status_
		.amdhsa_group_segment_fixed_size 0
		.amdhsa_private_segment_fixed_size 0
		.amdhsa_kernarg_size 80
		.amdhsa_user_sgpr_count 2
		.amdhsa_user_sgpr_dispatch_ptr 0
		.amdhsa_user_sgpr_queue_ptr 0
		.amdhsa_user_sgpr_kernarg_segment_ptr 1
		.amdhsa_user_sgpr_dispatch_id 0
		.amdhsa_user_sgpr_kernarg_preload_length 0
		.amdhsa_user_sgpr_kernarg_preload_offset 0
		.amdhsa_user_sgpr_private_segment_size 0
		.amdhsa_wavefront_size32 1
		.amdhsa_uses_dynamic_stack 0
		.amdhsa_enable_private_segment 0
		.amdhsa_system_sgpr_workgroup_id_x 1
		.amdhsa_system_sgpr_workgroup_id_y 0
		.amdhsa_system_sgpr_workgroup_id_z 0
		.amdhsa_system_sgpr_workgroup_info 0
		.amdhsa_system_vgpr_workitem_id 0
		.amdhsa_next_free_vgpr 24
		.amdhsa_next_free_sgpr 25
		.amdhsa_named_barrier_count 0
		.amdhsa_reserve_vcc 1
		.amdhsa_float_round_mode_32 0
		.amdhsa_float_round_mode_16_64 0
		.amdhsa_float_denorm_mode_32 3
		.amdhsa_float_denorm_mode_16_64 3
		.amdhsa_fp16_overflow 0
		.amdhsa_memory_ordered 1
		.amdhsa_forward_progress 1
		.amdhsa_inst_pref_size 9
		.amdhsa_round_robin_scheduling 0
		.amdhsa_exception_fp_ieee_invalid_op 0
		.amdhsa_exception_fp_denorm_src 0
		.amdhsa_exception_fp_ieee_div_zero 0
		.amdhsa_exception_fp_ieee_overflow 0
		.amdhsa_exception_fp_ieee_underflow 0
		.amdhsa_exception_fp_ieee_inexact 0
		.amdhsa_exception_int_div_zero 0
	.end_amdhsa_kernel
	.section	.text._ZN9rocsparseL23check_matrix_csr_deviceILj256ELj8E21rocsparse_complex_numIdEllEEvT3_S3_T2_PKT1_PKS4_PKS3_SB_21rocsparse_index_base_22rocsparse_matrix_type_20rocsparse_fill_mode_23rocsparse_storage_mode_P22rocsparse_data_status_,"axG",@progbits,_ZN9rocsparseL23check_matrix_csr_deviceILj256ELj8E21rocsparse_complex_numIdEllEEvT3_S3_T2_PKT1_PKS4_PKS3_SB_21rocsparse_index_base_22rocsparse_matrix_type_20rocsparse_fill_mode_23rocsparse_storage_mode_P22rocsparse_data_status_,comdat
.Lfunc_end84:
	.size	_ZN9rocsparseL23check_matrix_csr_deviceILj256ELj8E21rocsparse_complex_numIdEllEEvT3_S3_T2_PKT1_PKS4_PKS3_SB_21rocsparse_index_base_22rocsparse_matrix_type_20rocsparse_fill_mode_23rocsparse_storage_mode_P22rocsparse_data_status_, .Lfunc_end84-_ZN9rocsparseL23check_matrix_csr_deviceILj256ELj8E21rocsparse_complex_numIdEllEEvT3_S3_T2_PKT1_PKS4_PKS3_SB_21rocsparse_index_base_22rocsparse_matrix_type_20rocsparse_fill_mode_23rocsparse_storage_mode_P22rocsparse_data_status_
                                        ; -- End function
	.set _ZN9rocsparseL23check_matrix_csr_deviceILj256ELj8E21rocsparse_complex_numIdEllEEvT3_S3_T2_PKT1_PKS4_PKS3_SB_21rocsparse_index_base_22rocsparse_matrix_type_20rocsparse_fill_mode_23rocsparse_storage_mode_P22rocsparse_data_status_.num_vgpr, 24
	.set _ZN9rocsparseL23check_matrix_csr_deviceILj256ELj8E21rocsparse_complex_numIdEllEEvT3_S3_T2_PKT1_PKS4_PKS3_SB_21rocsparse_index_base_22rocsparse_matrix_type_20rocsparse_fill_mode_23rocsparse_storage_mode_P22rocsparse_data_status_.num_agpr, 0
	.set _ZN9rocsparseL23check_matrix_csr_deviceILj256ELj8E21rocsparse_complex_numIdEllEEvT3_S3_T2_PKT1_PKS4_PKS3_SB_21rocsparse_index_base_22rocsparse_matrix_type_20rocsparse_fill_mode_23rocsparse_storage_mode_P22rocsparse_data_status_.numbered_sgpr, 25
	.set _ZN9rocsparseL23check_matrix_csr_deviceILj256ELj8E21rocsparse_complex_numIdEllEEvT3_S3_T2_PKT1_PKS4_PKS3_SB_21rocsparse_index_base_22rocsparse_matrix_type_20rocsparse_fill_mode_23rocsparse_storage_mode_P22rocsparse_data_status_.num_named_barrier, 0
	.set _ZN9rocsparseL23check_matrix_csr_deviceILj256ELj8E21rocsparse_complex_numIdEllEEvT3_S3_T2_PKT1_PKS4_PKS3_SB_21rocsparse_index_base_22rocsparse_matrix_type_20rocsparse_fill_mode_23rocsparse_storage_mode_P22rocsparse_data_status_.private_seg_size, 0
	.set _ZN9rocsparseL23check_matrix_csr_deviceILj256ELj8E21rocsparse_complex_numIdEllEEvT3_S3_T2_PKT1_PKS4_PKS3_SB_21rocsparse_index_base_22rocsparse_matrix_type_20rocsparse_fill_mode_23rocsparse_storage_mode_P22rocsparse_data_status_.uses_vcc, 1
	.set _ZN9rocsparseL23check_matrix_csr_deviceILj256ELj8E21rocsparse_complex_numIdEllEEvT3_S3_T2_PKT1_PKS4_PKS3_SB_21rocsparse_index_base_22rocsparse_matrix_type_20rocsparse_fill_mode_23rocsparse_storage_mode_P22rocsparse_data_status_.uses_flat_scratch, 0
	.set _ZN9rocsparseL23check_matrix_csr_deviceILj256ELj8E21rocsparse_complex_numIdEllEEvT3_S3_T2_PKT1_PKS4_PKS3_SB_21rocsparse_index_base_22rocsparse_matrix_type_20rocsparse_fill_mode_23rocsparse_storage_mode_P22rocsparse_data_status_.has_dyn_sized_stack, 0
	.set _ZN9rocsparseL23check_matrix_csr_deviceILj256ELj8E21rocsparse_complex_numIdEllEEvT3_S3_T2_PKT1_PKS4_PKS3_SB_21rocsparse_index_base_22rocsparse_matrix_type_20rocsparse_fill_mode_23rocsparse_storage_mode_P22rocsparse_data_status_.has_recursion, 0
	.set _ZN9rocsparseL23check_matrix_csr_deviceILj256ELj8E21rocsparse_complex_numIdEllEEvT3_S3_T2_PKT1_PKS4_PKS3_SB_21rocsparse_index_base_22rocsparse_matrix_type_20rocsparse_fill_mode_23rocsparse_storage_mode_P22rocsparse_data_status_.has_indirect_call, 0
	.section	.AMDGPU.csdata,"",@progbits
; Kernel info:
; codeLenInByte = 1076
; TotalNumSgprs: 27
; NumVgprs: 24
; ScratchSize: 0
; MemoryBound: 0
; FloatMode: 240
; IeeeMode: 1
; LDSByteSize: 0 bytes/workgroup (compile time only)
; SGPRBlocks: 0
; VGPRBlocks: 1
; NumSGPRsForWavesPerEU: 27
; NumVGPRsForWavesPerEU: 24
; NamedBarCnt: 0
; Occupancy: 16
; WaveLimiterHint : 0
; COMPUTE_PGM_RSRC2:SCRATCH_EN: 0
; COMPUTE_PGM_RSRC2:USER_SGPR: 2
; COMPUTE_PGM_RSRC2:TRAP_HANDLER: 0
; COMPUTE_PGM_RSRC2:TGID_X_EN: 1
; COMPUTE_PGM_RSRC2:TGID_Y_EN: 0
; COMPUTE_PGM_RSRC2:TGID_Z_EN: 0
; COMPUTE_PGM_RSRC2:TIDIG_COMP_CNT: 0
	.section	.text._ZN9rocsparseL23check_matrix_csr_deviceILj256ELj16E21rocsparse_complex_numIdEllEEvT3_S3_T2_PKT1_PKS4_PKS3_SB_21rocsparse_index_base_22rocsparse_matrix_type_20rocsparse_fill_mode_23rocsparse_storage_mode_P22rocsparse_data_status_,"axG",@progbits,_ZN9rocsparseL23check_matrix_csr_deviceILj256ELj16E21rocsparse_complex_numIdEllEEvT3_S3_T2_PKT1_PKS4_PKS3_SB_21rocsparse_index_base_22rocsparse_matrix_type_20rocsparse_fill_mode_23rocsparse_storage_mode_P22rocsparse_data_status_,comdat
	.globl	_ZN9rocsparseL23check_matrix_csr_deviceILj256ELj16E21rocsparse_complex_numIdEllEEvT3_S3_T2_PKT1_PKS4_PKS3_SB_21rocsparse_index_base_22rocsparse_matrix_type_20rocsparse_fill_mode_23rocsparse_storage_mode_P22rocsparse_data_status_ ; -- Begin function _ZN9rocsparseL23check_matrix_csr_deviceILj256ELj16E21rocsparse_complex_numIdEllEEvT3_S3_T2_PKT1_PKS4_PKS3_SB_21rocsparse_index_base_22rocsparse_matrix_type_20rocsparse_fill_mode_23rocsparse_storage_mode_P22rocsparse_data_status_
	.p2align	8
	.type	_ZN9rocsparseL23check_matrix_csr_deviceILj256ELj16E21rocsparse_complex_numIdEllEEvT3_S3_T2_PKT1_PKS4_PKS3_SB_21rocsparse_index_base_22rocsparse_matrix_type_20rocsparse_fill_mode_23rocsparse_storage_mode_P22rocsparse_data_status_,@function
_ZN9rocsparseL23check_matrix_csr_deviceILj256ELj16E21rocsparse_complex_numIdEllEEvT3_S3_T2_PKT1_PKS4_PKS3_SB_21rocsparse_index_base_22rocsparse_matrix_type_20rocsparse_fill_mode_23rocsparse_storage_mode_P22rocsparse_data_status_: ; @_ZN9rocsparseL23check_matrix_csr_deviceILj256ELj16E21rocsparse_complex_numIdEllEEvT3_S3_T2_PKT1_PKS4_PKS3_SB_21rocsparse_index_base_22rocsparse_matrix_type_20rocsparse_fill_mode_23rocsparse_storage_mode_P22rocsparse_data_status_
; %bb.0:
	s_bfe_u32 s2, ttmp6, 0x4000c
	s_load_b128 s[4:7], s[0:1], 0x0
	s_add_co_i32 s2, s2, 1
	s_and_b32 s3, ttmp6, 15
	s_mul_i32 s2, ttmp9, s2
	s_getreg_b32 s8, hwreg(HW_REG_IB_STS2, 6, 4)
	s_add_co_i32 s3, s3, s2
	s_cmp_eq_u32 s8, 0
	v_mov_b32_e32 v5, 0
	s_cselect_b32 s2, ttmp9, s3
	s_delay_alu instid0(SALU_CYCLE_1) | instskip(SKIP_1) | instid1(VALU_DEP_1)
	v_lshl_or_b32 v1, s2, 8, v0
	s_mov_b32 s2, exec_lo
	v_lshrrev_b32_e32 v4, 4, v1
	s_wait_kmcnt 0x0
	s_delay_alu instid0(VALU_DEP_1)
	v_cmpx_gt_i64_e64 s[4:5], v[4:5]
	s_cbranch_execz .LBB85_31
; %bb.1:
	s_load_b64 s[2:3], s[0:1], 0x20
	v_dual_mov_b32 v22, 3 :: v_dual_lshlrev_b32 v1, 3, v4
	s_wait_kmcnt 0x0
	global_load_b128 v[10:13], v1, s[2:3]
	s_wait_xcnt 0x0
	s_load_b64 s[2:3], s[2:3], 0x0
	s_wait_loadcnt 0x0
	s_wait_kmcnt 0x0
	v_sub_nc_u64_e64 v[6:7], v[12:13], s[2:3]
	v_sub_nc_u64_e64 v[8:9], v[10:11], s[2:3]
	v_cmp_lt_i64_e64 s2, v[12:13], v[10:11]
	s_delay_alu instid0(VALU_DEP_3) | instskip(NEXT) | instid1(VALU_DEP_3)
	v_cmp_gt_i64_e32 vcc_lo, 0, v[6:7]
	v_cmp_lt_i64_e64 s3, -1, v[8:9]
	s_or_b32 s2, vcc_lo, s2
	s_delay_alu instid0(SALU_CYCLE_1) | instskip(SKIP_2) | instid1(SALU_CYCLE_1)
	s_xor_b32 s4, s2, -1
	s_mov_b32 s2, -1
	s_and_b32 s3, s3, s4
	s_and_saveexec_b32 s8, s3
	s_cbranch_execz .LBB85_29
; %bb.2:
	v_dual_mov_b32 v1, 0 :: v_dual_bitop2_b32 v0, 15, v0 bitop3:0x40
	v_mov_b32_e32 v22, 3
	s_mov_b32 s2, 0
	s_mov_b32 s9, exec_lo
	s_delay_alu instid0(VALU_DEP_2) | instskip(NEXT) | instid1(VALU_DEP_1)
	v_add_nc_u64_e32 v[10:11], v[8:9], v[0:1]
	v_cmpx_lt_u64_e64 v[10:11], v[6:7]
	s_cbranch_execz .LBB85_28
; %bb.3:
	s_clause 0x1
	s_load_b256 s[12:19], s[0:1], 0x28
	s_load_b64 s[2:3], s[0:1], 0x18
	v_lshl_add_u64 v[0:1], v[10:11], 3, -8
	s_mov_b32 s5, 0
	s_wait_kmcnt 0x0
	s_cmp_lg_u32 s17, 0
	v_lshl_add_u64 v[2:3], v[10:11], 4, s[2:3]
	v_add_nc_u64_e32 v[12:13], s[14:15], v[0:1]
	v_add_nc_u64_e32 v[14:15], s[12:13], v[0:1]
	s_cselect_b32 s10, -1, 0
	s_cmp_lg_u32 s18, 0
	v_add_nc_u64_e32 v[16:17], 8, v[2:3]
	s_cselect_b32 s11, -1, 0
	s_cmp_lg_u32 s19, 0
	s_mov_b32 s4, s16
	s_cselect_b32 s12, -1, 0
	s_mov_b32 s13, s5
                                        ; implicit-def: $sgpr14
                                        ; implicit-def: $sgpr15
                                        ; implicit-def: $sgpr16
	s_branch .LBB85_10
.LBB85_4:                               ;   in Loop: Header=BB85_10 Depth=1
	s_or_b32 exec_lo, exec_lo, s3
	s_delay_alu instid0(SALU_CYCLE_1)
	s_or_not1_b32 s24, s2, exec_lo
	s_or_not1_b32 s2, s21, exec_lo
.LBB85_5:                               ;   in Loop: Header=BB85_10 Depth=1
	s_or_b32 exec_lo, exec_lo, s22
	s_delay_alu instid0(SALU_CYCLE_1)
	s_or_not1_b32 s3, s24, exec_lo
	s_or_not1_b32 s2, s2, exec_lo
.LBB85_6:                               ;   in Loop: Header=BB85_10 Depth=1
	s_or_b32 exec_lo, exec_lo, s20
	s_delay_alu instid0(SALU_CYCLE_1)
	s_or_not1_b32 s20, s3, exec_lo
	s_or_not1_b32 s3, s2, exec_lo
.LBB85_7:                               ;   in Loop: Header=BB85_10 Depth=1
	s_or_b32 exec_lo, exec_lo, s19
	s_delay_alu instid0(SALU_CYCLE_1)
	s_or_not1_b32 s19, s20, exec_lo
	s_or_not1_b32 s2, s3, exec_lo
.LBB85_8:                               ;   in Loop: Header=BB85_10 Depth=1
	s_or_b32 exec_lo, exec_lo, s18
	s_delay_alu instid0(SALU_CYCLE_1)
	s_and_not1_b32 s3, s16, exec_lo
	s_and_b32 s16, s19, exec_lo
	s_and_not1_b32 s15, s15, exec_lo
	s_and_b32 s2, s2, exec_lo
	s_or_b32 s16, s3, s16
	s_or_b32 s15, s15, s2
.LBB85_9:                               ;   in Loop: Header=BB85_10 Depth=1
	s_or_b32 exec_lo, exec_lo, s17
	s_delay_alu instid0(SALU_CYCLE_1) | instskip(NEXT) | instid1(SALU_CYCLE_1)
	s_and_b32 s2, exec_lo, s15
	s_or_b32 s13, s2, s13
	s_and_not1_b32 s2, s14, exec_lo
	s_and_b32 s3, s16, exec_lo
	s_delay_alu instid0(SALU_CYCLE_1)
	s_or_b32 s14, s2, s3
	s_and_not1_b32 exec_lo, exec_lo, s13
	s_cbranch_execz .LBB85_27
.LBB85_10:                              ; =>This Inner Loop Header: Depth=1
	global_load_b64 v[18:19], v[14:15], off offset:8
	v_mov_b32_e32 v22, 4
	s_or_b32 s16, s16, exec_lo
	s_or_b32 s15, s15, exec_lo
	s_wait_loadcnt 0x0
	v_sub_nc_u64_e64 v[20:21], v[18:19], s[4:5]
	s_delay_alu instid0(VALU_DEP_1) | instskip(SKIP_2) | instid1(SALU_CYCLE_1)
	v_cmp_lt_i64_e32 vcc_lo, -1, v[20:21]
	v_cmp_gt_i64_e64 s2, s[6:7], v[20:21]
	s_and_b32 s2, vcc_lo, s2
	s_and_saveexec_b32 s17, s2
	s_cbranch_execz .LBB85_9
; %bb.11:                               ;   in Loop: Header=BB85_10 Depth=1
	v_cmp_le_i64_e64 s21, v[10:11], v[8:9]
	v_mov_b32_e32 v22, 4
	s_mov_b32 s18, exec_lo
	s_mov_b32 s3, s21
	v_cmpx_gt_i64_e64 v[10:11], v[8:9]
	s_cbranch_execz .LBB85_13
; %bb.12:                               ;   in Loop: Header=BB85_10 Depth=1
	global_load_b128 v[0:3], v[12:13], off
	s_wait_loadcnt 0x0
	v_sub_nc_u64_e64 v[22:23], v[0:1], s[4:5]
	v_cmp_ne_u64_e64 s3, v[2:3], v[0:1]
	s_delay_alu instid0(VALU_DEP_2) | instskip(SKIP_3) | instid1(SALU_CYCLE_1)
	v_cmp_lt_i64_e32 vcc_lo, -1, v[22:23]
	v_cmp_gt_i64_e64 s2, s[6:7], v[22:23]
	v_mov_b32_e32 v22, 5
	s_and_b32 s2, vcc_lo, s2
	s_xor_b32 s2, s2, -1
	s_delay_alu instid0(SALU_CYCLE_1) | instskip(SKIP_2) | instid1(SALU_CYCLE_1)
	s_or_b32 s2, s3, s2
	s_and_not1_b32 s3, s21, exec_lo
	s_and_b32 s2, s2, exec_lo
	s_or_b32 s3, s3, s2
.LBB85_13:                              ;   in Loop: Header=BB85_10 Depth=1
	s_or_b32 exec_lo, exec_lo, s18
	s_mov_b32 s2, -1
	s_mov_b32 s19, -1
	s_and_saveexec_b32 s18, s3
	s_cbranch_execz .LBB85_8
; %bb.14:                               ;   in Loop: Header=BB85_10 Depth=1
	global_load_b128 v[0:3], v[16:17], off offset:-8
	v_mov_b32_e32 v22, 1
	s_mov_b32 s3, -1
	s_mov_b32 s20, -1
	s_wait_loadcnt 0x0
	v_cmp_neq_f64_e32 vcc_lo, 0x7ff00000, v[0:1]
	v_cmp_neq_f64_e64 s2, 0x7ff00000, v[2:3]
	s_and_b32 s2, vcc_lo, s2
	s_delay_alu instid0(SALU_CYCLE_1)
	s_and_saveexec_b32 s19, s2
	s_cbranch_execz .LBB85_7
; %bb.15:                               ;   in Loop: Header=BB85_10 Depth=1
	v_mov_b32_e32 v22, 2
	s_mov_b32 s2, -1
	s_mov_b32 s20, exec_lo
	v_cmpx_o_f64_e32 v[0:1], v[2:3]
	s_cbranch_execz .LBB85_6
; %bb.16:                               ;   in Loop: Header=BB85_10 Depth=1
	s_and_b32 vcc_lo, exec_lo, s10
	s_cbranch_vccz .LBB85_19
; %bb.17:                               ;   in Loop: Header=BB85_10 Depth=1
	s_and_b32 vcc_lo, exec_lo, s11
	s_cbranch_vccz .LBB85_20
; %bb.18:                               ;   in Loop: Header=BB85_10 Depth=1
	v_cmp_ge_i64_e32 vcc_lo, v[20:21], v[4:5]
	s_mov_b32 s3, 7
	s_and_b32 s23, vcc_lo, exec_lo
	s_cbranch_execz .LBB85_21
	s_branch .LBB85_22
.LBB85_19:                              ;   in Loop: Header=BB85_10 Depth=1
	s_mov_b32 s3, 2
	s_mov_b32 s23, -1
	s_branch .LBB85_22
.LBB85_20:                              ;   in Loop: Header=BB85_10 Depth=1
	s_mov_b32 s23, 0
	s_mov_b32 s3, 2
.LBB85_21:                              ;   in Loop: Header=BB85_10 Depth=1
	v_cmp_le_i64_e32 vcc_lo, v[20:21], v[4:5]
	s_and_not1_b32 s22, s23, exec_lo
	s_mov_b32 s3, 7
	s_and_b32 s23, vcc_lo, exec_lo
	s_delay_alu instid0(SALU_CYCLE_1)
	s_or_b32 s23, s22, s23
.LBB85_22:                              ;   in Loop: Header=BB85_10 Depth=1
	v_mov_b32_e32 v22, s3
	s_mov_b32 s24, -1
	s_and_saveexec_b32 s22, s23
	s_cbranch_execz .LBB85_5
; %bb.23:                               ;   in Loop: Header=BB85_10 Depth=1
	v_mov_b32_e32 v22, s3
	s_nor_b32 s2, s12, s21
	s_mov_b32 s21, -1
	s_and_saveexec_b32 s23, s2
	s_cbranch_execz .LBB85_25
; %bb.24:                               ;   in Loop: Header=BB85_10 Depth=1
	global_load_b64 v[0:1], v[14:15], off
	v_mov_b32_e32 v22, 6
	s_wait_loadcnt 0x0
	v_sub_nc_u64_e64 v[2:3], v[0:1], s[4:5]
	v_cmp_gt_i64_e64 s3, v[18:19], v[0:1]
	s_delay_alu instid0(VALU_DEP_2) | instskip(SKIP_2) | instid1(SALU_CYCLE_1)
	v_cmp_lt_i64_e32 vcc_lo, -1, v[2:3]
	v_cmp_gt_i64_e64 s2, s[6:7], v[2:3]
	s_and_b32 s2, vcc_lo, s2
	s_xor_b32 s2, s2, -1
	s_delay_alu instid0(SALU_CYCLE_1) | instskip(NEXT) | instid1(SALU_CYCLE_1)
	s_or_b32 s2, s3, s2
	s_or_not1_b32 s24, s2, exec_lo
.LBB85_25:                              ;   in Loop: Header=BB85_10 Depth=1
	s_or_b32 exec_lo, exec_lo, s23
	s_mov_b32 s2, -1
	s_and_saveexec_b32 s3, s24
	s_cbranch_execz .LBB85_4
; %bb.26:                               ;   in Loop: Header=BB85_10 Depth=1
	v_add_nc_u64_e32 v[10:11], 16, v[10:11]
	v_add_nc_u64_e32 v[12:13], 0x80, v[12:13]
	;; [unrolled: 1-line block ×4, first 2 shown]
	s_xor_b32 s2, exec_lo, -1
	s_delay_alu instid0(VALU_DEP_4)
	v_cmp_ge_i64_e32 vcc_lo, v[10:11], v[6:7]
	s_or_not1_b32 s21, vcc_lo, exec_lo
	s_branch .LBB85_4
.LBB85_27:
	s_or_b32 exec_lo, exec_lo, s13
	s_delay_alu instid0(SALU_CYCLE_1)
	s_and_b32 s2, s14, exec_lo
.LBB85_28:
	s_or_b32 exec_lo, exec_lo, s9
	s_delay_alu instid0(SALU_CYCLE_1)
	s_or_not1_b32 s2, s2, exec_lo
.LBB85_29:
	s_or_b32 exec_lo, exec_lo, s8
	s_delay_alu instid0(SALU_CYCLE_1)
	s_and_b32 exec_lo, exec_lo, s2
	s_cbranch_execz .LBB85_31
; %bb.30:
	s_load_b64 s[0:1], s[0:1], 0x48
	v_mov_b32_e32 v0, 0
	s_wait_kmcnt 0x0
	global_store_b32 v0, v22, s[0:1]
.LBB85_31:
	s_endpgm
	.section	.rodata,"a",@progbits
	.p2align	6, 0x0
	.amdhsa_kernel _ZN9rocsparseL23check_matrix_csr_deviceILj256ELj16E21rocsparse_complex_numIdEllEEvT3_S3_T2_PKT1_PKS4_PKS3_SB_21rocsparse_index_base_22rocsparse_matrix_type_20rocsparse_fill_mode_23rocsparse_storage_mode_P22rocsparse_data_status_
		.amdhsa_group_segment_fixed_size 0
		.amdhsa_private_segment_fixed_size 0
		.amdhsa_kernarg_size 80
		.amdhsa_user_sgpr_count 2
		.amdhsa_user_sgpr_dispatch_ptr 0
		.amdhsa_user_sgpr_queue_ptr 0
		.amdhsa_user_sgpr_kernarg_segment_ptr 1
		.amdhsa_user_sgpr_dispatch_id 0
		.amdhsa_user_sgpr_kernarg_preload_length 0
		.amdhsa_user_sgpr_kernarg_preload_offset 0
		.amdhsa_user_sgpr_private_segment_size 0
		.amdhsa_wavefront_size32 1
		.amdhsa_uses_dynamic_stack 0
		.amdhsa_enable_private_segment 0
		.amdhsa_system_sgpr_workgroup_id_x 1
		.amdhsa_system_sgpr_workgroup_id_y 0
		.amdhsa_system_sgpr_workgroup_id_z 0
		.amdhsa_system_sgpr_workgroup_info 0
		.amdhsa_system_vgpr_workitem_id 0
		.amdhsa_next_free_vgpr 24
		.amdhsa_next_free_sgpr 25
		.amdhsa_named_barrier_count 0
		.amdhsa_reserve_vcc 1
		.amdhsa_float_round_mode_32 0
		.amdhsa_float_round_mode_16_64 0
		.amdhsa_float_denorm_mode_32 3
		.amdhsa_float_denorm_mode_16_64 3
		.amdhsa_fp16_overflow 0
		.amdhsa_memory_ordered 1
		.amdhsa_forward_progress 1
		.amdhsa_inst_pref_size 9
		.amdhsa_round_robin_scheduling 0
		.amdhsa_exception_fp_ieee_invalid_op 0
		.amdhsa_exception_fp_denorm_src 0
		.amdhsa_exception_fp_ieee_div_zero 0
		.amdhsa_exception_fp_ieee_overflow 0
		.amdhsa_exception_fp_ieee_underflow 0
		.amdhsa_exception_fp_ieee_inexact 0
		.amdhsa_exception_int_div_zero 0
	.end_amdhsa_kernel
	.section	.text._ZN9rocsparseL23check_matrix_csr_deviceILj256ELj16E21rocsparse_complex_numIdEllEEvT3_S3_T2_PKT1_PKS4_PKS3_SB_21rocsparse_index_base_22rocsparse_matrix_type_20rocsparse_fill_mode_23rocsparse_storage_mode_P22rocsparse_data_status_,"axG",@progbits,_ZN9rocsparseL23check_matrix_csr_deviceILj256ELj16E21rocsparse_complex_numIdEllEEvT3_S3_T2_PKT1_PKS4_PKS3_SB_21rocsparse_index_base_22rocsparse_matrix_type_20rocsparse_fill_mode_23rocsparse_storage_mode_P22rocsparse_data_status_,comdat
.Lfunc_end85:
	.size	_ZN9rocsparseL23check_matrix_csr_deviceILj256ELj16E21rocsparse_complex_numIdEllEEvT3_S3_T2_PKT1_PKS4_PKS3_SB_21rocsparse_index_base_22rocsparse_matrix_type_20rocsparse_fill_mode_23rocsparse_storage_mode_P22rocsparse_data_status_, .Lfunc_end85-_ZN9rocsparseL23check_matrix_csr_deviceILj256ELj16E21rocsparse_complex_numIdEllEEvT3_S3_T2_PKT1_PKS4_PKS3_SB_21rocsparse_index_base_22rocsparse_matrix_type_20rocsparse_fill_mode_23rocsparse_storage_mode_P22rocsparse_data_status_
                                        ; -- End function
	.set _ZN9rocsparseL23check_matrix_csr_deviceILj256ELj16E21rocsparse_complex_numIdEllEEvT3_S3_T2_PKT1_PKS4_PKS3_SB_21rocsparse_index_base_22rocsparse_matrix_type_20rocsparse_fill_mode_23rocsparse_storage_mode_P22rocsparse_data_status_.num_vgpr, 24
	.set _ZN9rocsparseL23check_matrix_csr_deviceILj256ELj16E21rocsparse_complex_numIdEllEEvT3_S3_T2_PKT1_PKS4_PKS3_SB_21rocsparse_index_base_22rocsparse_matrix_type_20rocsparse_fill_mode_23rocsparse_storage_mode_P22rocsparse_data_status_.num_agpr, 0
	.set _ZN9rocsparseL23check_matrix_csr_deviceILj256ELj16E21rocsparse_complex_numIdEllEEvT3_S3_T2_PKT1_PKS4_PKS3_SB_21rocsparse_index_base_22rocsparse_matrix_type_20rocsparse_fill_mode_23rocsparse_storage_mode_P22rocsparse_data_status_.numbered_sgpr, 25
	.set _ZN9rocsparseL23check_matrix_csr_deviceILj256ELj16E21rocsparse_complex_numIdEllEEvT3_S3_T2_PKT1_PKS4_PKS3_SB_21rocsparse_index_base_22rocsparse_matrix_type_20rocsparse_fill_mode_23rocsparse_storage_mode_P22rocsparse_data_status_.num_named_barrier, 0
	.set _ZN9rocsparseL23check_matrix_csr_deviceILj256ELj16E21rocsparse_complex_numIdEllEEvT3_S3_T2_PKT1_PKS4_PKS3_SB_21rocsparse_index_base_22rocsparse_matrix_type_20rocsparse_fill_mode_23rocsparse_storage_mode_P22rocsparse_data_status_.private_seg_size, 0
	.set _ZN9rocsparseL23check_matrix_csr_deviceILj256ELj16E21rocsparse_complex_numIdEllEEvT3_S3_T2_PKT1_PKS4_PKS3_SB_21rocsparse_index_base_22rocsparse_matrix_type_20rocsparse_fill_mode_23rocsparse_storage_mode_P22rocsparse_data_status_.uses_vcc, 1
	.set _ZN9rocsparseL23check_matrix_csr_deviceILj256ELj16E21rocsparse_complex_numIdEllEEvT3_S3_T2_PKT1_PKS4_PKS3_SB_21rocsparse_index_base_22rocsparse_matrix_type_20rocsparse_fill_mode_23rocsparse_storage_mode_P22rocsparse_data_status_.uses_flat_scratch, 0
	.set _ZN9rocsparseL23check_matrix_csr_deviceILj256ELj16E21rocsparse_complex_numIdEllEEvT3_S3_T2_PKT1_PKS4_PKS3_SB_21rocsparse_index_base_22rocsparse_matrix_type_20rocsparse_fill_mode_23rocsparse_storage_mode_P22rocsparse_data_status_.has_dyn_sized_stack, 0
	.set _ZN9rocsparseL23check_matrix_csr_deviceILj256ELj16E21rocsparse_complex_numIdEllEEvT3_S3_T2_PKT1_PKS4_PKS3_SB_21rocsparse_index_base_22rocsparse_matrix_type_20rocsparse_fill_mode_23rocsparse_storage_mode_P22rocsparse_data_status_.has_recursion, 0
	.set _ZN9rocsparseL23check_matrix_csr_deviceILj256ELj16E21rocsparse_complex_numIdEllEEvT3_S3_T2_PKT1_PKS4_PKS3_SB_21rocsparse_index_base_22rocsparse_matrix_type_20rocsparse_fill_mode_23rocsparse_storage_mode_P22rocsparse_data_status_.has_indirect_call, 0
	.section	.AMDGPU.csdata,"",@progbits
; Kernel info:
; codeLenInByte = 1084
; TotalNumSgprs: 27
; NumVgprs: 24
; ScratchSize: 0
; MemoryBound: 0
; FloatMode: 240
; IeeeMode: 1
; LDSByteSize: 0 bytes/workgroup (compile time only)
; SGPRBlocks: 0
; VGPRBlocks: 1
; NumSGPRsForWavesPerEU: 27
; NumVGPRsForWavesPerEU: 24
; NamedBarCnt: 0
; Occupancy: 16
; WaveLimiterHint : 0
; COMPUTE_PGM_RSRC2:SCRATCH_EN: 0
; COMPUTE_PGM_RSRC2:USER_SGPR: 2
; COMPUTE_PGM_RSRC2:TRAP_HANDLER: 0
; COMPUTE_PGM_RSRC2:TGID_X_EN: 1
; COMPUTE_PGM_RSRC2:TGID_Y_EN: 0
; COMPUTE_PGM_RSRC2:TGID_Z_EN: 0
; COMPUTE_PGM_RSRC2:TIDIG_COMP_CNT: 0
	.section	.text._ZN9rocsparseL23check_matrix_csr_deviceILj256ELj32E21rocsparse_complex_numIdEllEEvT3_S3_T2_PKT1_PKS4_PKS3_SB_21rocsparse_index_base_22rocsparse_matrix_type_20rocsparse_fill_mode_23rocsparse_storage_mode_P22rocsparse_data_status_,"axG",@progbits,_ZN9rocsparseL23check_matrix_csr_deviceILj256ELj32E21rocsparse_complex_numIdEllEEvT3_S3_T2_PKT1_PKS4_PKS3_SB_21rocsparse_index_base_22rocsparse_matrix_type_20rocsparse_fill_mode_23rocsparse_storage_mode_P22rocsparse_data_status_,comdat
	.globl	_ZN9rocsparseL23check_matrix_csr_deviceILj256ELj32E21rocsparse_complex_numIdEllEEvT3_S3_T2_PKT1_PKS4_PKS3_SB_21rocsparse_index_base_22rocsparse_matrix_type_20rocsparse_fill_mode_23rocsparse_storage_mode_P22rocsparse_data_status_ ; -- Begin function _ZN9rocsparseL23check_matrix_csr_deviceILj256ELj32E21rocsparse_complex_numIdEllEEvT3_S3_T2_PKT1_PKS4_PKS3_SB_21rocsparse_index_base_22rocsparse_matrix_type_20rocsparse_fill_mode_23rocsparse_storage_mode_P22rocsparse_data_status_
	.p2align	8
	.type	_ZN9rocsparseL23check_matrix_csr_deviceILj256ELj32E21rocsparse_complex_numIdEllEEvT3_S3_T2_PKT1_PKS4_PKS3_SB_21rocsparse_index_base_22rocsparse_matrix_type_20rocsparse_fill_mode_23rocsparse_storage_mode_P22rocsparse_data_status_,@function
_ZN9rocsparseL23check_matrix_csr_deviceILj256ELj32E21rocsparse_complex_numIdEllEEvT3_S3_T2_PKT1_PKS4_PKS3_SB_21rocsparse_index_base_22rocsparse_matrix_type_20rocsparse_fill_mode_23rocsparse_storage_mode_P22rocsparse_data_status_: ; @_ZN9rocsparseL23check_matrix_csr_deviceILj256ELj32E21rocsparse_complex_numIdEllEEvT3_S3_T2_PKT1_PKS4_PKS3_SB_21rocsparse_index_base_22rocsparse_matrix_type_20rocsparse_fill_mode_23rocsparse_storage_mode_P22rocsparse_data_status_
; %bb.0:
	s_bfe_u32 s2, ttmp6, 0x4000c
	s_load_b128 s[4:7], s[0:1], 0x0
	s_add_co_i32 s2, s2, 1
	s_and_b32 s3, ttmp6, 15
	s_mul_i32 s2, ttmp9, s2
	s_getreg_b32 s8, hwreg(HW_REG_IB_STS2, 6, 4)
	s_add_co_i32 s3, s3, s2
	s_cmp_eq_u32 s8, 0
	v_mov_b32_e32 v5, 0
	s_cselect_b32 s2, ttmp9, s3
	s_delay_alu instid0(SALU_CYCLE_1) | instskip(SKIP_1) | instid1(VALU_DEP_1)
	v_lshl_or_b32 v1, s2, 8, v0
	s_mov_b32 s2, exec_lo
	v_lshrrev_b32_e32 v4, 5, v1
	s_wait_kmcnt 0x0
	s_delay_alu instid0(VALU_DEP_1)
	v_cmpx_gt_i64_e64 s[4:5], v[4:5]
	s_cbranch_execz .LBB86_31
; %bb.1:
	s_load_b64 s[2:3], s[0:1], 0x20
	v_dual_mov_b32 v22, 3 :: v_dual_lshlrev_b32 v1, 3, v4
	s_wait_kmcnt 0x0
	global_load_b128 v[10:13], v1, s[2:3]
	s_wait_xcnt 0x0
	s_load_b64 s[2:3], s[2:3], 0x0
	s_wait_loadcnt 0x0
	s_wait_kmcnt 0x0
	v_sub_nc_u64_e64 v[6:7], v[12:13], s[2:3]
	v_sub_nc_u64_e64 v[8:9], v[10:11], s[2:3]
	v_cmp_lt_i64_e64 s2, v[12:13], v[10:11]
	s_delay_alu instid0(VALU_DEP_3) | instskip(NEXT) | instid1(VALU_DEP_3)
	v_cmp_gt_i64_e32 vcc_lo, 0, v[6:7]
	v_cmp_lt_i64_e64 s3, -1, v[8:9]
	s_or_b32 s2, vcc_lo, s2
	s_delay_alu instid0(SALU_CYCLE_1) | instskip(SKIP_2) | instid1(SALU_CYCLE_1)
	s_xor_b32 s4, s2, -1
	s_mov_b32 s2, -1
	s_and_b32 s3, s3, s4
	s_and_saveexec_b32 s8, s3
	s_cbranch_execz .LBB86_29
; %bb.2:
	v_dual_mov_b32 v1, 0 :: v_dual_bitop2_b32 v0, 31, v0 bitop3:0x40
	v_mov_b32_e32 v22, 3
	s_mov_b32 s2, 0
	s_mov_b32 s9, exec_lo
	s_delay_alu instid0(VALU_DEP_2) | instskip(NEXT) | instid1(VALU_DEP_1)
	v_add_nc_u64_e32 v[10:11], v[8:9], v[0:1]
	v_cmpx_lt_u64_e64 v[10:11], v[6:7]
	s_cbranch_execz .LBB86_28
; %bb.3:
	s_clause 0x1
	s_load_b256 s[12:19], s[0:1], 0x28
	s_load_b64 s[2:3], s[0:1], 0x18
	v_lshl_add_u64 v[0:1], v[10:11], 3, -8
	s_mov_b32 s5, 0
	s_wait_kmcnt 0x0
	s_cmp_lg_u32 s17, 0
	v_lshl_add_u64 v[2:3], v[10:11], 4, s[2:3]
	v_add_nc_u64_e32 v[12:13], s[14:15], v[0:1]
	v_add_nc_u64_e32 v[14:15], s[12:13], v[0:1]
	s_cselect_b32 s10, -1, 0
	s_cmp_lg_u32 s18, 0
	v_add_nc_u64_e32 v[16:17], 8, v[2:3]
	s_cselect_b32 s11, -1, 0
	s_cmp_lg_u32 s19, 0
	s_mov_b32 s4, s16
	s_cselect_b32 s12, -1, 0
	s_mov_b32 s13, s5
                                        ; implicit-def: $sgpr14
                                        ; implicit-def: $sgpr15
                                        ; implicit-def: $sgpr16
	s_branch .LBB86_10
.LBB86_4:                               ;   in Loop: Header=BB86_10 Depth=1
	s_or_b32 exec_lo, exec_lo, s3
	s_delay_alu instid0(SALU_CYCLE_1)
	s_or_not1_b32 s24, s2, exec_lo
	s_or_not1_b32 s2, s21, exec_lo
.LBB86_5:                               ;   in Loop: Header=BB86_10 Depth=1
	s_or_b32 exec_lo, exec_lo, s22
	s_delay_alu instid0(SALU_CYCLE_1)
	s_or_not1_b32 s3, s24, exec_lo
	s_or_not1_b32 s2, s2, exec_lo
.LBB86_6:                               ;   in Loop: Header=BB86_10 Depth=1
	s_or_b32 exec_lo, exec_lo, s20
	s_delay_alu instid0(SALU_CYCLE_1)
	s_or_not1_b32 s20, s3, exec_lo
	s_or_not1_b32 s3, s2, exec_lo
.LBB86_7:                               ;   in Loop: Header=BB86_10 Depth=1
	s_or_b32 exec_lo, exec_lo, s19
	s_delay_alu instid0(SALU_CYCLE_1)
	s_or_not1_b32 s19, s20, exec_lo
	s_or_not1_b32 s2, s3, exec_lo
.LBB86_8:                               ;   in Loop: Header=BB86_10 Depth=1
	s_or_b32 exec_lo, exec_lo, s18
	s_delay_alu instid0(SALU_CYCLE_1)
	s_and_not1_b32 s3, s16, exec_lo
	s_and_b32 s16, s19, exec_lo
	s_and_not1_b32 s15, s15, exec_lo
	s_and_b32 s2, s2, exec_lo
	s_or_b32 s16, s3, s16
	s_or_b32 s15, s15, s2
.LBB86_9:                               ;   in Loop: Header=BB86_10 Depth=1
	s_or_b32 exec_lo, exec_lo, s17
	s_delay_alu instid0(SALU_CYCLE_1) | instskip(NEXT) | instid1(SALU_CYCLE_1)
	s_and_b32 s2, exec_lo, s15
	s_or_b32 s13, s2, s13
	s_and_not1_b32 s2, s14, exec_lo
	s_and_b32 s3, s16, exec_lo
	s_delay_alu instid0(SALU_CYCLE_1)
	s_or_b32 s14, s2, s3
	s_and_not1_b32 exec_lo, exec_lo, s13
	s_cbranch_execz .LBB86_27
.LBB86_10:                              ; =>This Inner Loop Header: Depth=1
	global_load_b64 v[18:19], v[14:15], off offset:8
	v_mov_b32_e32 v22, 4
	s_or_b32 s16, s16, exec_lo
	s_or_b32 s15, s15, exec_lo
	s_wait_loadcnt 0x0
	v_sub_nc_u64_e64 v[20:21], v[18:19], s[4:5]
	s_delay_alu instid0(VALU_DEP_1) | instskip(SKIP_2) | instid1(SALU_CYCLE_1)
	v_cmp_lt_i64_e32 vcc_lo, -1, v[20:21]
	v_cmp_gt_i64_e64 s2, s[6:7], v[20:21]
	s_and_b32 s2, vcc_lo, s2
	s_and_saveexec_b32 s17, s2
	s_cbranch_execz .LBB86_9
; %bb.11:                               ;   in Loop: Header=BB86_10 Depth=1
	v_cmp_le_i64_e64 s21, v[10:11], v[8:9]
	v_mov_b32_e32 v22, 4
	s_mov_b32 s18, exec_lo
	s_mov_b32 s3, s21
	v_cmpx_gt_i64_e64 v[10:11], v[8:9]
	s_cbranch_execz .LBB86_13
; %bb.12:                               ;   in Loop: Header=BB86_10 Depth=1
	global_load_b128 v[0:3], v[12:13], off
	s_wait_loadcnt 0x0
	v_sub_nc_u64_e64 v[22:23], v[0:1], s[4:5]
	v_cmp_ne_u64_e64 s3, v[2:3], v[0:1]
	s_delay_alu instid0(VALU_DEP_2) | instskip(SKIP_3) | instid1(SALU_CYCLE_1)
	v_cmp_lt_i64_e32 vcc_lo, -1, v[22:23]
	v_cmp_gt_i64_e64 s2, s[6:7], v[22:23]
	v_mov_b32_e32 v22, 5
	s_and_b32 s2, vcc_lo, s2
	s_xor_b32 s2, s2, -1
	s_delay_alu instid0(SALU_CYCLE_1) | instskip(SKIP_2) | instid1(SALU_CYCLE_1)
	s_or_b32 s2, s3, s2
	s_and_not1_b32 s3, s21, exec_lo
	s_and_b32 s2, s2, exec_lo
	s_or_b32 s3, s3, s2
.LBB86_13:                              ;   in Loop: Header=BB86_10 Depth=1
	s_or_b32 exec_lo, exec_lo, s18
	s_mov_b32 s2, -1
	s_mov_b32 s19, -1
	s_and_saveexec_b32 s18, s3
	s_cbranch_execz .LBB86_8
; %bb.14:                               ;   in Loop: Header=BB86_10 Depth=1
	global_load_b128 v[0:3], v[16:17], off offset:-8
	v_mov_b32_e32 v22, 1
	s_mov_b32 s3, -1
	s_mov_b32 s20, -1
	s_wait_loadcnt 0x0
	v_cmp_neq_f64_e32 vcc_lo, 0x7ff00000, v[0:1]
	v_cmp_neq_f64_e64 s2, 0x7ff00000, v[2:3]
	s_and_b32 s2, vcc_lo, s2
	s_delay_alu instid0(SALU_CYCLE_1)
	s_and_saveexec_b32 s19, s2
	s_cbranch_execz .LBB86_7
; %bb.15:                               ;   in Loop: Header=BB86_10 Depth=1
	v_mov_b32_e32 v22, 2
	s_mov_b32 s2, -1
	s_mov_b32 s20, exec_lo
	v_cmpx_o_f64_e32 v[0:1], v[2:3]
	s_cbranch_execz .LBB86_6
; %bb.16:                               ;   in Loop: Header=BB86_10 Depth=1
	s_and_b32 vcc_lo, exec_lo, s10
	s_cbranch_vccz .LBB86_19
; %bb.17:                               ;   in Loop: Header=BB86_10 Depth=1
	s_and_b32 vcc_lo, exec_lo, s11
	s_cbranch_vccz .LBB86_20
; %bb.18:                               ;   in Loop: Header=BB86_10 Depth=1
	v_cmp_ge_i64_e32 vcc_lo, v[20:21], v[4:5]
	s_mov_b32 s3, 7
	s_and_b32 s23, vcc_lo, exec_lo
	s_cbranch_execz .LBB86_21
	s_branch .LBB86_22
.LBB86_19:                              ;   in Loop: Header=BB86_10 Depth=1
	s_mov_b32 s3, 2
	s_mov_b32 s23, -1
	s_branch .LBB86_22
.LBB86_20:                              ;   in Loop: Header=BB86_10 Depth=1
	s_mov_b32 s23, 0
	s_mov_b32 s3, 2
.LBB86_21:                              ;   in Loop: Header=BB86_10 Depth=1
	v_cmp_le_i64_e32 vcc_lo, v[20:21], v[4:5]
	s_and_not1_b32 s22, s23, exec_lo
	s_mov_b32 s3, 7
	s_and_b32 s23, vcc_lo, exec_lo
	s_delay_alu instid0(SALU_CYCLE_1)
	s_or_b32 s23, s22, s23
.LBB86_22:                              ;   in Loop: Header=BB86_10 Depth=1
	v_mov_b32_e32 v22, s3
	s_mov_b32 s24, -1
	s_and_saveexec_b32 s22, s23
	s_cbranch_execz .LBB86_5
; %bb.23:                               ;   in Loop: Header=BB86_10 Depth=1
	v_mov_b32_e32 v22, s3
	s_nor_b32 s2, s12, s21
	s_mov_b32 s21, -1
	s_and_saveexec_b32 s23, s2
	s_cbranch_execz .LBB86_25
; %bb.24:                               ;   in Loop: Header=BB86_10 Depth=1
	global_load_b64 v[0:1], v[14:15], off
	v_mov_b32_e32 v22, 6
	s_wait_loadcnt 0x0
	v_sub_nc_u64_e64 v[2:3], v[0:1], s[4:5]
	v_cmp_gt_i64_e64 s3, v[18:19], v[0:1]
	s_delay_alu instid0(VALU_DEP_2) | instskip(SKIP_2) | instid1(SALU_CYCLE_1)
	v_cmp_lt_i64_e32 vcc_lo, -1, v[2:3]
	v_cmp_gt_i64_e64 s2, s[6:7], v[2:3]
	s_and_b32 s2, vcc_lo, s2
	s_xor_b32 s2, s2, -1
	s_delay_alu instid0(SALU_CYCLE_1) | instskip(NEXT) | instid1(SALU_CYCLE_1)
	s_or_b32 s2, s3, s2
	s_or_not1_b32 s24, s2, exec_lo
.LBB86_25:                              ;   in Loop: Header=BB86_10 Depth=1
	s_or_b32 exec_lo, exec_lo, s23
	s_mov_b32 s2, -1
	s_and_saveexec_b32 s3, s24
	s_cbranch_execz .LBB86_4
; %bb.26:                               ;   in Loop: Header=BB86_10 Depth=1
	v_add_nc_u64_e32 v[10:11], 32, v[10:11]
	v_add_nc_u64_e32 v[12:13], 0x100, v[12:13]
	;; [unrolled: 1-line block ×4, first 2 shown]
	s_xor_b32 s2, exec_lo, -1
	s_delay_alu instid0(VALU_DEP_4)
	v_cmp_ge_i64_e32 vcc_lo, v[10:11], v[6:7]
	s_or_not1_b32 s21, vcc_lo, exec_lo
	s_branch .LBB86_4
.LBB86_27:
	s_or_b32 exec_lo, exec_lo, s13
	s_delay_alu instid0(SALU_CYCLE_1)
	s_and_b32 s2, s14, exec_lo
.LBB86_28:
	s_or_b32 exec_lo, exec_lo, s9
	s_delay_alu instid0(SALU_CYCLE_1)
	s_or_not1_b32 s2, s2, exec_lo
.LBB86_29:
	s_or_b32 exec_lo, exec_lo, s8
	s_delay_alu instid0(SALU_CYCLE_1)
	s_and_b32 exec_lo, exec_lo, s2
	s_cbranch_execz .LBB86_31
; %bb.30:
	s_load_b64 s[0:1], s[0:1], 0x48
	v_mov_b32_e32 v0, 0
	s_wait_kmcnt 0x0
	global_store_b32 v0, v22, s[0:1]
.LBB86_31:
	s_endpgm
	.section	.rodata,"a",@progbits
	.p2align	6, 0x0
	.amdhsa_kernel _ZN9rocsparseL23check_matrix_csr_deviceILj256ELj32E21rocsparse_complex_numIdEllEEvT3_S3_T2_PKT1_PKS4_PKS3_SB_21rocsparse_index_base_22rocsparse_matrix_type_20rocsparse_fill_mode_23rocsparse_storage_mode_P22rocsparse_data_status_
		.amdhsa_group_segment_fixed_size 0
		.amdhsa_private_segment_fixed_size 0
		.amdhsa_kernarg_size 80
		.amdhsa_user_sgpr_count 2
		.amdhsa_user_sgpr_dispatch_ptr 0
		.amdhsa_user_sgpr_queue_ptr 0
		.amdhsa_user_sgpr_kernarg_segment_ptr 1
		.amdhsa_user_sgpr_dispatch_id 0
		.amdhsa_user_sgpr_kernarg_preload_length 0
		.amdhsa_user_sgpr_kernarg_preload_offset 0
		.amdhsa_user_sgpr_private_segment_size 0
		.amdhsa_wavefront_size32 1
		.amdhsa_uses_dynamic_stack 0
		.amdhsa_enable_private_segment 0
		.amdhsa_system_sgpr_workgroup_id_x 1
		.amdhsa_system_sgpr_workgroup_id_y 0
		.amdhsa_system_sgpr_workgroup_id_z 0
		.amdhsa_system_sgpr_workgroup_info 0
		.amdhsa_system_vgpr_workitem_id 0
		.amdhsa_next_free_vgpr 24
		.amdhsa_next_free_sgpr 25
		.amdhsa_named_barrier_count 0
		.amdhsa_reserve_vcc 1
		.amdhsa_float_round_mode_32 0
		.amdhsa_float_round_mode_16_64 0
		.amdhsa_float_denorm_mode_32 3
		.amdhsa_float_denorm_mode_16_64 3
		.amdhsa_fp16_overflow 0
		.amdhsa_memory_ordered 1
		.amdhsa_forward_progress 1
		.amdhsa_inst_pref_size 9
		.amdhsa_round_robin_scheduling 0
		.amdhsa_exception_fp_ieee_invalid_op 0
		.amdhsa_exception_fp_denorm_src 0
		.amdhsa_exception_fp_ieee_div_zero 0
		.amdhsa_exception_fp_ieee_overflow 0
		.amdhsa_exception_fp_ieee_underflow 0
		.amdhsa_exception_fp_ieee_inexact 0
		.amdhsa_exception_int_div_zero 0
	.end_amdhsa_kernel
	.section	.text._ZN9rocsparseL23check_matrix_csr_deviceILj256ELj32E21rocsparse_complex_numIdEllEEvT3_S3_T2_PKT1_PKS4_PKS3_SB_21rocsparse_index_base_22rocsparse_matrix_type_20rocsparse_fill_mode_23rocsparse_storage_mode_P22rocsparse_data_status_,"axG",@progbits,_ZN9rocsparseL23check_matrix_csr_deviceILj256ELj32E21rocsparse_complex_numIdEllEEvT3_S3_T2_PKT1_PKS4_PKS3_SB_21rocsparse_index_base_22rocsparse_matrix_type_20rocsparse_fill_mode_23rocsparse_storage_mode_P22rocsparse_data_status_,comdat
.Lfunc_end86:
	.size	_ZN9rocsparseL23check_matrix_csr_deviceILj256ELj32E21rocsparse_complex_numIdEllEEvT3_S3_T2_PKT1_PKS4_PKS3_SB_21rocsparse_index_base_22rocsparse_matrix_type_20rocsparse_fill_mode_23rocsparse_storage_mode_P22rocsparse_data_status_, .Lfunc_end86-_ZN9rocsparseL23check_matrix_csr_deviceILj256ELj32E21rocsparse_complex_numIdEllEEvT3_S3_T2_PKT1_PKS4_PKS3_SB_21rocsparse_index_base_22rocsparse_matrix_type_20rocsparse_fill_mode_23rocsparse_storage_mode_P22rocsparse_data_status_
                                        ; -- End function
	.set _ZN9rocsparseL23check_matrix_csr_deviceILj256ELj32E21rocsparse_complex_numIdEllEEvT3_S3_T2_PKT1_PKS4_PKS3_SB_21rocsparse_index_base_22rocsparse_matrix_type_20rocsparse_fill_mode_23rocsparse_storage_mode_P22rocsparse_data_status_.num_vgpr, 24
	.set _ZN9rocsparseL23check_matrix_csr_deviceILj256ELj32E21rocsparse_complex_numIdEllEEvT3_S3_T2_PKT1_PKS4_PKS3_SB_21rocsparse_index_base_22rocsparse_matrix_type_20rocsparse_fill_mode_23rocsparse_storage_mode_P22rocsparse_data_status_.num_agpr, 0
	.set _ZN9rocsparseL23check_matrix_csr_deviceILj256ELj32E21rocsparse_complex_numIdEllEEvT3_S3_T2_PKT1_PKS4_PKS3_SB_21rocsparse_index_base_22rocsparse_matrix_type_20rocsparse_fill_mode_23rocsparse_storage_mode_P22rocsparse_data_status_.numbered_sgpr, 25
	.set _ZN9rocsparseL23check_matrix_csr_deviceILj256ELj32E21rocsparse_complex_numIdEllEEvT3_S3_T2_PKT1_PKS4_PKS3_SB_21rocsparse_index_base_22rocsparse_matrix_type_20rocsparse_fill_mode_23rocsparse_storage_mode_P22rocsparse_data_status_.num_named_barrier, 0
	.set _ZN9rocsparseL23check_matrix_csr_deviceILj256ELj32E21rocsparse_complex_numIdEllEEvT3_S3_T2_PKT1_PKS4_PKS3_SB_21rocsparse_index_base_22rocsparse_matrix_type_20rocsparse_fill_mode_23rocsparse_storage_mode_P22rocsparse_data_status_.private_seg_size, 0
	.set _ZN9rocsparseL23check_matrix_csr_deviceILj256ELj32E21rocsparse_complex_numIdEllEEvT3_S3_T2_PKT1_PKS4_PKS3_SB_21rocsparse_index_base_22rocsparse_matrix_type_20rocsparse_fill_mode_23rocsparse_storage_mode_P22rocsparse_data_status_.uses_vcc, 1
	.set _ZN9rocsparseL23check_matrix_csr_deviceILj256ELj32E21rocsparse_complex_numIdEllEEvT3_S3_T2_PKT1_PKS4_PKS3_SB_21rocsparse_index_base_22rocsparse_matrix_type_20rocsparse_fill_mode_23rocsparse_storage_mode_P22rocsparse_data_status_.uses_flat_scratch, 0
	.set _ZN9rocsparseL23check_matrix_csr_deviceILj256ELj32E21rocsparse_complex_numIdEllEEvT3_S3_T2_PKT1_PKS4_PKS3_SB_21rocsparse_index_base_22rocsparse_matrix_type_20rocsparse_fill_mode_23rocsparse_storage_mode_P22rocsparse_data_status_.has_dyn_sized_stack, 0
	.set _ZN9rocsparseL23check_matrix_csr_deviceILj256ELj32E21rocsparse_complex_numIdEllEEvT3_S3_T2_PKT1_PKS4_PKS3_SB_21rocsparse_index_base_22rocsparse_matrix_type_20rocsparse_fill_mode_23rocsparse_storage_mode_P22rocsparse_data_status_.has_recursion, 0
	.set _ZN9rocsparseL23check_matrix_csr_deviceILj256ELj32E21rocsparse_complex_numIdEllEEvT3_S3_T2_PKT1_PKS4_PKS3_SB_21rocsparse_index_base_22rocsparse_matrix_type_20rocsparse_fill_mode_23rocsparse_storage_mode_P22rocsparse_data_status_.has_indirect_call, 0
	.section	.AMDGPU.csdata,"",@progbits
; Kernel info:
; codeLenInByte = 1084
; TotalNumSgprs: 27
; NumVgprs: 24
; ScratchSize: 0
; MemoryBound: 0
; FloatMode: 240
; IeeeMode: 1
; LDSByteSize: 0 bytes/workgroup (compile time only)
; SGPRBlocks: 0
; VGPRBlocks: 1
; NumSGPRsForWavesPerEU: 27
; NumVGPRsForWavesPerEU: 24
; NamedBarCnt: 0
; Occupancy: 16
; WaveLimiterHint : 0
; COMPUTE_PGM_RSRC2:SCRATCH_EN: 0
; COMPUTE_PGM_RSRC2:USER_SGPR: 2
; COMPUTE_PGM_RSRC2:TRAP_HANDLER: 0
; COMPUTE_PGM_RSRC2:TGID_X_EN: 1
; COMPUTE_PGM_RSRC2:TGID_Y_EN: 0
; COMPUTE_PGM_RSRC2:TGID_Z_EN: 0
; COMPUTE_PGM_RSRC2:TIDIG_COMP_CNT: 0
	.section	.text._ZN9rocsparseL23check_matrix_csr_deviceILj256ELj64E21rocsparse_complex_numIdEllEEvT3_S3_T2_PKT1_PKS4_PKS3_SB_21rocsparse_index_base_22rocsparse_matrix_type_20rocsparse_fill_mode_23rocsparse_storage_mode_P22rocsparse_data_status_,"axG",@progbits,_ZN9rocsparseL23check_matrix_csr_deviceILj256ELj64E21rocsparse_complex_numIdEllEEvT3_S3_T2_PKT1_PKS4_PKS3_SB_21rocsparse_index_base_22rocsparse_matrix_type_20rocsparse_fill_mode_23rocsparse_storage_mode_P22rocsparse_data_status_,comdat
	.globl	_ZN9rocsparseL23check_matrix_csr_deviceILj256ELj64E21rocsparse_complex_numIdEllEEvT3_S3_T2_PKT1_PKS4_PKS3_SB_21rocsparse_index_base_22rocsparse_matrix_type_20rocsparse_fill_mode_23rocsparse_storage_mode_P22rocsparse_data_status_ ; -- Begin function _ZN9rocsparseL23check_matrix_csr_deviceILj256ELj64E21rocsparse_complex_numIdEllEEvT3_S3_T2_PKT1_PKS4_PKS3_SB_21rocsparse_index_base_22rocsparse_matrix_type_20rocsparse_fill_mode_23rocsparse_storage_mode_P22rocsparse_data_status_
	.p2align	8
	.type	_ZN9rocsparseL23check_matrix_csr_deviceILj256ELj64E21rocsparse_complex_numIdEllEEvT3_S3_T2_PKT1_PKS4_PKS3_SB_21rocsparse_index_base_22rocsparse_matrix_type_20rocsparse_fill_mode_23rocsparse_storage_mode_P22rocsparse_data_status_,@function
_ZN9rocsparseL23check_matrix_csr_deviceILj256ELj64E21rocsparse_complex_numIdEllEEvT3_S3_T2_PKT1_PKS4_PKS3_SB_21rocsparse_index_base_22rocsparse_matrix_type_20rocsparse_fill_mode_23rocsparse_storage_mode_P22rocsparse_data_status_: ; @_ZN9rocsparseL23check_matrix_csr_deviceILj256ELj64E21rocsparse_complex_numIdEllEEvT3_S3_T2_PKT1_PKS4_PKS3_SB_21rocsparse_index_base_22rocsparse_matrix_type_20rocsparse_fill_mode_23rocsparse_storage_mode_P22rocsparse_data_status_
; %bb.0:
	s_bfe_u32 s2, ttmp6, 0x4000c
	s_load_b128 s[4:7], s[0:1], 0x0
	s_add_co_i32 s2, s2, 1
	s_and_b32 s3, ttmp6, 15
	s_mul_i32 s2, ttmp9, s2
	s_getreg_b32 s8, hwreg(HW_REG_IB_STS2, 6, 4)
	s_add_co_i32 s3, s3, s2
	s_cmp_eq_u32 s8, 0
	v_mov_b32_e32 v5, 0
	s_cselect_b32 s2, ttmp9, s3
	s_delay_alu instid0(SALU_CYCLE_1) | instskip(SKIP_1) | instid1(VALU_DEP_1)
	v_lshl_or_b32 v1, s2, 8, v0
	s_mov_b32 s2, exec_lo
	v_lshrrev_b32_e32 v4, 6, v1
	s_wait_kmcnt 0x0
	s_delay_alu instid0(VALU_DEP_1)
	v_cmpx_gt_i64_e64 s[4:5], v[4:5]
	s_cbranch_execz .LBB87_31
; %bb.1:
	s_load_b64 s[2:3], s[0:1], 0x20
	v_dual_mov_b32 v22, 3 :: v_dual_lshlrev_b32 v1, 3, v4
	s_wait_kmcnt 0x0
	global_load_b128 v[10:13], v1, s[2:3]
	s_wait_xcnt 0x0
	s_load_b64 s[2:3], s[2:3], 0x0
	s_wait_loadcnt 0x0
	s_wait_kmcnt 0x0
	v_sub_nc_u64_e64 v[6:7], v[12:13], s[2:3]
	v_sub_nc_u64_e64 v[8:9], v[10:11], s[2:3]
	v_cmp_lt_i64_e64 s2, v[12:13], v[10:11]
	s_delay_alu instid0(VALU_DEP_3) | instskip(NEXT) | instid1(VALU_DEP_3)
	v_cmp_gt_i64_e32 vcc_lo, 0, v[6:7]
	v_cmp_lt_i64_e64 s3, -1, v[8:9]
	s_or_b32 s2, vcc_lo, s2
	s_delay_alu instid0(SALU_CYCLE_1) | instskip(SKIP_2) | instid1(SALU_CYCLE_1)
	s_xor_b32 s4, s2, -1
	s_mov_b32 s2, -1
	s_and_b32 s3, s3, s4
	s_and_saveexec_b32 s8, s3
	s_cbranch_execz .LBB87_29
; %bb.2:
	v_dual_mov_b32 v1, 0 :: v_dual_bitop2_b32 v0, 63, v0 bitop3:0x40
	v_mov_b32_e32 v22, 3
	s_mov_b32 s2, 0
	s_mov_b32 s9, exec_lo
	s_delay_alu instid0(VALU_DEP_2) | instskip(NEXT) | instid1(VALU_DEP_1)
	v_add_nc_u64_e32 v[10:11], v[8:9], v[0:1]
	v_cmpx_lt_u64_e64 v[10:11], v[6:7]
	s_cbranch_execz .LBB87_28
; %bb.3:
	s_clause 0x1
	s_load_b256 s[12:19], s[0:1], 0x28
	s_load_b64 s[2:3], s[0:1], 0x18
	v_lshl_add_u64 v[0:1], v[10:11], 3, -8
	s_mov_b32 s5, 0
	s_wait_kmcnt 0x0
	s_cmp_lg_u32 s17, 0
	v_lshl_add_u64 v[2:3], v[10:11], 4, s[2:3]
	v_add_nc_u64_e32 v[12:13], s[14:15], v[0:1]
	v_add_nc_u64_e32 v[14:15], s[12:13], v[0:1]
	s_cselect_b32 s10, -1, 0
	s_cmp_lg_u32 s18, 0
	v_add_nc_u64_e32 v[16:17], 8, v[2:3]
	s_cselect_b32 s11, -1, 0
	s_cmp_lg_u32 s19, 0
	s_mov_b32 s4, s16
	s_cselect_b32 s12, -1, 0
	s_mov_b32 s13, s5
                                        ; implicit-def: $sgpr14
                                        ; implicit-def: $sgpr15
                                        ; implicit-def: $sgpr16
	s_branch .LBB87_10
.LBB87_4:                               ;   in Loop: Header=BB87_10 Depth=1
	s_or_b32 exec_lo, exec_lo, s3
	s_delay_alu instid0(SALU_CYCLE_1)
	s_or_not1_b32 s24, s2, exec_lo
	s_or_not1_b32 s2, s21, exec_lo
.LBB87_5:                               ;   in Loop: Header=BB87_10 Depth=1
	s_or_b32 exec_lo, exec_lo, s22
	s_delay_alu instid0(SALU_CYCLE_1)
	s_or_not1_b32 s3, s24, exec_lo
	s_or_not1_b32 s2, s2, exec_lo
.LBB87_6:                               ;   in Loop: Header=BB87_10 Depth=1
	s_or_b32 exec_lo, exec_lo, s20
	s_delay_alu instid0(SALU_CYCLE_1)
	s_or_not1_b32 s20, s3, exec_lo
	s_or_not1_b32 s3, s2, exec_lo
.LBB87_7:                               ;   in Loop: Header=BB87_10 Depth=1
	s_or_b32 exec_lo, exec_lo, s19
	s_delay_alu instid0(SALU_CYCLE_1)
	s_or_not1_b32 s19, s20, exec_lo
	s_or_not1_b32 s2, s3, exec_lo
.LBB87_8:                               ;   in Loop: Header=BB87_10 Depth=1
	s_or_b32 exec_lo, exec_lo, s18
	s_delay_alu instid0(SALU_CYCLE_1)
	s_and_not1_b32 s3, s16, exec_lo
	s_and_b32 s16, s19, exec_lo
	s_and_not1_b32 s15, s15, exec_lo
	s_and_b32 s2, s2, exec_lo
	s_or_b32 s16, s3, s16
	s_or_b32 s15, s15, s2
.LBB87_9:                               ;   in Loop: Header=BB87_10 Depth=1
	s_or_b32 exec_lo, exec_lo, s17
	s_delay_alu instid0(SALU_CYCLE_1) | instskip(NEXT) | instid1(SALU_CYCLE_1)
	s_and_b32 s2, exec_lo, s15
	s_or_b32 s13, s2, s13
	s_and_not1_b32 s2, s14, exec_lo
	s_and_b32 s3, s16, exec_lo
	s_delay_alu instid0(SALU_CYCLE_1)
	s_or_b32 s14, s2, s3
	s_and_not1_b32 exec_lo, exec_lo, s13
	s_cbranch_execz .LBB87_27
.LBB87_10:                              ; =>This Inner Loop Header: Depth=1
	global_load_b64 v[18:19], v[14:15], off offset:8
	v_mov_b32_e32 v22, 4
	s_or_b32 s16, s16, exec_lo
	s_or_b32 s15, s15, exec_lo
	s_wait_loadcnt 0x0
	v_sub_nc_u64_e64 v[20:21], v[18:19], s[4:5]
	s_delay_alu instid0(VALU_DEP_1) | instskip(SKIP_2) | instid1(SALU_CYCLE_1)
	v_cmp_lt_i64_e32 vcc_lo, -1, v[20:21]
	v_cmp_gt_i64_e64 s2, s[6:7], v[20:21]
	s_and_b32 s2, vcc_lo, s2
	s_and_saveexec_b32 s17, s2
	s_cbranch_execz .LBB87_9
; %bb.11:                               ;   in Loop: Header=BB87_10 Depth=1
	v_cmp_le_i64_e64 s21, v[10:11], v[8:9]
	v_mov_b32_e32 v22, 4
	s_mov_b32 s18, exec_lo
	s_mov_b32 s3, s21
	v_cmpx_gt_i64_e64 v[10:11], v[8:9]
	s_cbranch_execz .LBB87_13
; %bb.12:                               ;   in Loop: Header=BB87_10 Depth=1
	global_load_b128 v[0:3], v[12:13], off
	s_wait_loadcnt 0x0
	v_sub_nc_u64_e64 v[22:23], v[0:1], s[4:5]
	v_cmp_ne_u64_e64 s3, v[2:3], v[0:1]
	s_delay_alu instid0(VALU_DEP_2) | instskip(SKIP_3) | instid1(SALU_CYCLE_1)
	v_cmp_lt_i64_e32 vcc_lo, -1, v[22:23]
	v_cmp_gt_i64_e64 s2, s[6:7], v[22:23]
	v_mov_b32_e32 v22, 5
	s_and_b32 s2, vcc_lo, s2
	s_xor_b32 s2, s2, -1
	s_delay_alu instid0(SALU_CYCLE_1) | instskip(SKIP_2) | instid1(SALU_CYCLE_1)
	s_or_b32 s2, s3, s2
	s_and_not1_b32 s3, s21, exec_lo
	s_and_b32 s2, s2, exec_lo
	s_or_b32 s3, s3, s2
.LBB87_13:                              ;   in Loop: Header=BB87_10 Depth=1
	s_or_b32 exec_lo, exec_lo, s18
	s_mov_b32 s2, -1
	s_mov_b32 s19, -1
	s_and_saveexec_b32 s18, s3
	s_cbranch_execz .LBB87_8
; %bb.14:                               ;   in Loop: Header=BB87_10 Depth=1
	global_load_b128 v[0:3], v[16:17], off offset:-8
	v_mov_b32_e32 v22, 1
	s_mov_b32 s3, -1
	s_mov_b32 s20, -1
	s_wait_loadcnt 0x0
	v_cmp_neq_f64_e32 vcc_lo, 0x7ff00000, v[0:1]
	v_cmp_neq_f64_e64 s2, 0x7ff00000, v[2:3]
	s_and_b32 s2, vcc_lo, s2
	s_delay_alu instid0(SALU_CYCLE_1)
	s_and_saveexec_b32 s19, s2
	s_cbranch_execz .LBB87_7
; %bb.15:                               ;   in Loop: Header=BB87_10 Depth=1
	v_mov_b32_e32 v22, 2
	s_mov_b32 s2, -1
	s_mov_b32 s20, exec_lo
	v_cmpx_o_f64_e32 v[0:1], v[2:3]
	s_cbranch_execz .LBB87_6
; %bb.16:                               ;   in Loop: Header=BB87_10 Depth=1
	s_and_b32 vcc_lo, exec_lo, s10
	s_cbranch_vccz .LBB87_19
; %bb.17:                               ;   in Loop: Header=BB87_10 Depth=1
	s_and_b32 vcc_lo, exec_lo, s11
	s_cbranch_vccz .LBB87_20
; %bb.18:                               ;   in Loop: Header=BB87_10 Depth=1
	v_cmp_ge_i64_e32 vcc_lo, v[20:21], v[4:5]
	s_mov_b32 s3, 7
	s_and_b32 s23, vcc_lo, exec_lo
	s_cbranch_execz .LBB87_21
	s_branch .LBB87_22
.LBB87_19:                              ;   in Loop: Header=BB87_10 Depth=1
	s_mov_b32 s3, 2
	s_mov_b32 s23, -1
	s_branch .LBB87_22
.LBB87_20:                              ;   in Loop: Header=BB87_10 Depth=1
	s_mov_b32 s23, 0
	s_mov_b32 s3, 2
.LBB87_21:                              ;   in Loop: Header=BB87_10 Depth=1
	v_cmp_le_i64_e32 vcc_lo, v[20:21], v[4:5]
	s_and_not1_b32 s22, s23, exec_lo
	s_mov_b32 s3, 7
	s_and_b32 s23, vcc_lo, exec_lo
	s_delay_alu instid0(SALU_CYCLE_1)
	s_or_b32 s23, s22, s23
.LBB87_22:                              ;   in Loop: Header=BB87_10 Depth=1
	v_mov_b32_e32 v22, s3
	s_mov_b32 s24, -1
	s_and_saveexec_b32 s22, s23
	s_cbranch_execz .LBB87_5
; %bb.23:                               ;   in Loop: Header=BB87_10 Depth=1
	v_mov_b32_e32 v22, s3
	s_nor_b32 s2, s12, s21
	s_mov_b32 s21, -1
	s_and_saveexec_b32 s23, s2
	s_cbranch_execz .LBB87_25
; %bb.24:                               ;   in Loop: Header=BB87_10 Depth=1
	global_load_b64 v[0:1], v[14:15], off
	v_mov_b32_e32 v22, 6
	s_wait_loadcnt 0x0
	v_sub_nc_u64_e64 v[2:3], v[0:1], s[4:5]
	v_cmp_gt_i64_e64 s3, v[18:19], v[0:1]
	s_delay_alu instid0(VALU_DEP_2) | instskip(SKIP_2) | instid1(SALU_CYCLE_1)
	v_cmp_lt_i64_e32 vcc_lo, -1, v[2:3]
	v_cmp_gt_i64_e64 s2, s[6:7], v[2:3]
	s_and_b32 s2, vcc_lo, s2
	s_xor_b32 s2, s2, -1
	s_delay_alu instid0(SALU_CYCLE_1) | instskip(NEXT) | instid1(SALU_CYCLE_1)
	s_or_b32 s2, s3, s2
	s_or_not1_b32 s24, s2, exec_lo
.LBB87_25:                              ;   in Loop: Header=BB87_10 Depth=1
	s_or_b32 exec_lo, exec_lo, s23
	s_mov_b32 s2, -1
	s_and_saveexec_b32 s3, s24
	s_cbranch_execz .LBB87_4
; %bb.26:                               ;   in Loop: Header=BB87_10 Depth=1
	v_add_nc_u64_e32 v[10:11], 64, v[10:11]
	v_add_nc_u64_e32 v[12:13], 0x200, v[12:13]
	;; [unrolled: 1-line block ×4, first 2 shown]
	s_xor_b32 s2, exec_lo, -1
	s_delay_alu instid0(VALU_DEP_4)
	v_cmp_ge_i64_e32 vcc_lo, v[10:11], v[6:7]
	s_or_not1_b32 s21, vcc_lo, exec_lo
	s_branch .LBB87_4
.LBB87_27:
	s_or_b32 exec_lo, exec_lo, s13
	s_delay_alu instid0(SALU_CYCLE_1)
	s_and_b32 s2, s14, exec_lo
.LBB87_28:
	s_or_b32 exec_lo, exec_lo, s9
	s_delay_alu instid0(SALU_CYCLE_1)
	s_or_not1_b32 s2, s2, exec_lo
.LBB87_29:
	s_or_b32 exec_lo, exec_lo, s8
	s_delay_alu instid0(SALU_CYCLE_1)
	s_and_b32 exec_lo, exec_lo, s2
	s_cbranch_execz .LBB87_31
; %bb.30:
	s_load_b64 s[0:1], s[0:1], 0x48
	v_mov_b32_e32 v0, 0
	s_wait_kmcnt 0x0
	global_store_b32 v0, v22, s[0:1]
.LBB87_31:
	s_endpgm
	.section	.rodata,"a",@progbits
	.p2align	6, 0x0
	.amdhsa_kernel _ZN9rocsparseL23check_matrix_csr_deviceILj256ELj64E21rocsparse_complex_numIdEllEEvT3_S3_T2_PKT1_PKS4_PKS3_SB_21rocsparse_index_base_22rocsparse_matrix_type_20rocsparse_fill_mode_23rocsparse_storage_mode_P22rocsparse_data_status_
		.amdhsa_group_segment_fixed_size 0
		.amdhsa_private_segment_fixed_size 0
		.amdhsa_kernarg_size 80
		.amdhsa_user_sgpr_count 2
		.amdhsa_user_sgpr_dispatch_ptr 0
		.amdhsa_user_sgpr_queue_ptr 0
		.amdhsa_user_sgpr_kernarg_segment_ptr 1
		.amdhsa_user_sgpr_dispatch_id 0
		.amdhsa_user_sgpr_kernarg_preload_length 0
		.amdhsa_user_sgpr_kernarg_preload_offset 0
		.amdhsa_user_sgpr_private_segment_size 0
		.amdhsa_wavefront_size32 1
		.amdhsa_uses_dynamic_stack 0
		.amdhsa_enable_private_segment 0
		.amdhsa_system_sgpr_workgroup_id_x 1
		.amdhsa_system_sgpr_workgroup_id_y 0
		.amdhsa_system_sgpr_workgroup_id_z 0
		.amdhsa_system_sgpr_workgroup_info 0
		.amdhsa_system_vgpr_workitem_id 0
		.amdhsa_next_free_vgpr 24
		.amdhsa_next_free_sgpr 25
		.amdhsa_named_barrier_count 0
		.amdhsa_reserve_vcc 1
		.amdhsa_float_round_mode_32 0
		.amdhsa_float_round_mode_16_64 0
		.amdhsa_float_denorm_mode_32 3
		.amdhsa_float_denorm_mode_16_64 3
		.amdhsa_fp16_overflow 0
		.amdhsa_memory_ordered 1
		.amdhsa_forward_progress 1
		.amdhsa_inst_pref_size 9
		.amdhsa_round_robin_scheduling 0
		.amdhsa_exception_fp_ieee_invalid_op 0
		.amdhsa_exception_fp_denorm_src 0
		.amdhsa_exception_fp_ieee_div_zero 0
		.amdhsa_exception_fp_ieee_overflow 0
		.amdhsa_exception_fp_ieee_underflow 0
		.amdhsa_exception_fp_ieee_inexact 0
		.amdhsa_exception_int_div_zero 0
	.end_amdhsa_kernel
	.section	.text._ZN9rocsparseL23check_matrix_csr_deviceILj256ELj64E21rocsparse_complex_numIdEllEEvT3_S3_T2_PKT1_PKS4_PKS3_SB_21rocsparse_index_base_22rocsparse_matrix_type_20rocsparse_fill_mode_23rocsparse_storage_mode_P22rocsparse_data_status_,"axG",@progbits,_ZN9rocsparseL23check_matrix_csr_deviceILj256ELj64E21rocsparse_complex_numIdEllEEvT3_S3_T2_PKT1_PKS4_PKS3_SB_21rocsparse_index_base_22rocsparse_matrix_type_20rocsparse_fill_mode_23rocsparse_storage_mode_P22rocsparse_data_status_,comdat
.Lfunc_end87:
	.size	_ZN9rocsparseL23check_matrix_csr_deviceILj256ELj64E21rocsparse_complex_numIdEllEEvT3_S3_T2_PKT1_PKS4_PKS3_SB_21rocsparse_index_base_22rocsparse_matrix_type_20rocsparse_fill_mode_23rocsparse_storage_mode_P22rocsparse_data_status_, .Lfunc_end87-_ZN9rocsparseL23check_matrix_csr_deviceILj256ELj64E21rocsparse_complex_numIdEllEEvT3_S3_T2_PKT1_PKS4_PKS3_SB_21rocsparse_index_base_22rocsparse_matrix_type_20rocsparse_fill_mode_23rocsparse_storage_mode_P22rocsparse_data_status_
                                        ; -- End function
	.set _ZN9rocsparseL23check_matrix_csr_deviceILj256ELj64E21rocsparse_complex_numIdEllEEvT3_S3_T2_PKT1_PKS4_PKS3_SB_21rocsparse_index_base_22rocsparse_matrix_type_20rocsparse_fill_mode_23rocsparse_storage_mode_P22rocsparse_data_status_.num_vgpr, 24
	.set _ZN9rocsparseL23check_matrix_csr_deviceILj256ELj64E21rocsparse_complex_numIdEllEEvT3_S3_T2_PKT1_PKS4_PKS3_SB_21rocsparse_index_base_22rocsparse_matrix_type_20rocsparse_fill_mode_23rocsparse_storage_mode_P22rocsparse_data_status_.num_agpr, 0
	.set _ZN9rocsparseL23check_matrix_csr_deviceILj256ELj64E21rocsparse_complex_numIdEllEEvT3_S3_T2_PKT1_PKS4_PKS3_SB_21rocsparse_index_base_22rocsparse_matrix_type_20rocsparse_fill_mode_23rocsparse_storage_mode_P22rocsparse_data_status_.numbered_sgpr, 25
	.set _ZN9rocsparseL23check_matrix_csr_deviceILj256ELj64E21rocsparse_complex_numIdEllEEvT3_S3_T2_PKT1_PKS4_PKS3_SB_21rocsparse_index_base_22rocsparse_matrix_type_20rocsparse_fill_mode_23rocsparse_storage_mode_P22rocsparse_data_status_.num_named_barrier, 0
	.set _ZN9rocsparseL23check_matrix_csr_deviceILj256ELj64E21rocsparse_complex_numIdEllEEvT3_S3_T2_PKT1_PKS4_PKS3_SB_21rocsparse_index_base_22rocsparse_matrix_type_20rocsparse_fill_mode_23rocsparse_storage_mode_P22rocsparse_data_status_.private_seg_size, 0
	.set _ZN9rocsparseL23check_matrix_csr_deviceILj256ELj64E21rocsparse_complex_numIdEllEEvT3_S3_T2_PKT1_PKS4_PKS3_SB_21rocsparse_index_base_22rocsparse_matrix_type_20rocsparse_fill_mode_23rocsparse_storage_mode_P22rocsparse_data_status_.uses_vcc, 1
	.set _ZN9rocsparseL23check_matrix_csr_deviceILj256ELj64E21rocsparse_complex_numIdEllEEvT3_S3_T2_PKT1_PKS4_PKS3_SB_21rocsparse_index_base_22rocsparse_matrix_type_20rocsparse_fill_mode_23rocsparse_storage_mode_P22rocsparse_data_status_.uses_flat_scratch, 0
	.set _ZN9rocsparseL23check_matrix_csr_deviceILj256ELj64E21rocsparse_complex_numIdEllEEvT3_S3_T2_PKT1_PKS4_PKS3_SB_21rocsparse_index_base_22rocsparse_matrix_type_20rocsparse_fill_mode_23rocsparse_storage_mode_P22rocsparse_data_status_.has_dyn_sized_stack, 0
	.set _ZN9rocsparseL23check_matrix_csr_deviceILj256ELj64E21rocsparse_complex_numIdEllEEvT3_S3_T2_PKT1_PKS4_PKS3_SB_21rocsparse_index_base_22rocsparse_matrix_type_20rocsparse_fill_mode_23rocsparse_storage_mode_P22rocsparse_data_status_.has_recursion, 0
	.set _ZN9rocsparseL23check_matrix_csr_deviceILj256ELj64E21rocsparse_complex_numIdEllEEvT3_S3_T2_PKT1_PKS4_PKS3_SB_21rocsparse_index_base_22rocsparse_matrix_type_20rocsparse_fill_mode_23rocsparse_storage_mode_P22rocsparse_data_status_.has_indirect_call, 0
	.section	.AMDGPU.csdata,"",@progbits
; Kernel info:
; codeLenInByte = 1084
; TotalNumSgprs: 27
; NumVgprs: 24
; ScratchSize: 0
; MemoryBound: 0
; FloatMode: 240
; IeeeMode: 1
; LDSByteSize: 0 bytes/workgroup (compile time only)
; SGPRBlocks: 0
; VGPRBlocks: 1
; NumSGPRsForWavesPerEU: 27
; NumVGPRsForWavesPerEU: 24
; NamedBarCnt: 0
; Occupancy: 16
; WaveLimiterHint : 0
; COMPUTE_PGM_RSRC2:SCRATCH_EN: 0
; COMPUTE_PGM_RSRC2:USER_SGPR: 2
; COMPUTE_PGM_RSRC2:TRAP_HANDLER: 0
; COMPUTE_PGM_RSRC2:TGID_X_EN: 1
; COMPUTE_PGM_RSRC2:TGID_Y_EN: 0
; COMPUTE_PGM_RSRC2:TGID_Z_EN: 0
; COMPUTE_PGM_RSRC2:TIDIG_COMP_CNT: 0
	.section	.text._ZN9rocsparseL23check_matrix_csr_deviceILj256ELj128E21rocsparse_complex_numIdEllEEvT3_S3_T2_PKT1_PKS4_PKS3_SB_21rocsparse_index_base_22rocsparse_matrix_type_20rocsparse_fill_mode_23rocsparse_storage_mode_P22rocsparse_data_status_,"axG",@progbits,_ZN9rocsparseL23check_matrix_csr_deviceILj256ELj128E21rocsparse_complex_numIdEllEEvT3_S3_T2_PKT1_PKS4_PKS3_SB_21rocsparse_index_base_22rocsparse_matrix_type_20rocsparse_fill_mode_23rocsparse_storage_mode_P22rocsparse_data_status_,comdat
	.globl	_ZN9rocsparseL23check_matrix_csr_deviceILj256ELj128E21rocsparse_complex_numIdEllEEvT3_S3_T2_PKT1_PKS4_PKS3_SB_21rocsparse_index_base_22rocsparse_matrix_type_20rocsparse_fill_mode_23rocsparse_storage_mode_P22rocsparse_data_status_ ; -- Begin function _ZN9rocsparseL23check_matrix_csr_deviceILj256ELj128E21rocsparse_complex_numIdEllEEvT3_S3_T2_PKT1_PKS4_PKS3_SB_21rocsparse_index_base_22rocsparse_matrix_type_20rocsparse_fill_mode_23rocsparse_storage_mode_P22rocsparse_data_status_
	.p2align	8
	.type	_ZN9rocsparseL23check_matrix_csr_deviceILj256ELj128E21rocsparse_complex_numIdEllEEvT3_S3_T2_PKT1_PKS4_PKS3_SB_21rocsparse_index_base_22rocsparse_matrix_type_20rocsparse_fill_mode_23rocsparse_storage_mode_P22rocsparse_data_status_,@function
_ZN9rocsparseL23check_matrix_csr_deviceILj256ELj128E21rocsparse_complex_numIdEllEEvT3_S3_T2_PKT1_PKS4_PKS3_SB_21rocsparse_index_base_22rocsparse_matrix_type_20rocsparse_fill_mode_23rocsparse_storage_mode_P22rocsparse_data_status_: ; @_ZN9rocsparseL23check_matrix_csr_deviceILj256ELj128E21rocsparse_complex_numIdEllEEvT3_S3_T2_PKT1_PKS4_PKS3_SB_21rocsparse_index_base_22rocsparse_matrix_type_20rocsparse_fill_mode_23rocsparse_storage_mode_P22rocsparse_data_status_
; %bb.0:
	s_bfe_u32 s2, ttmp6, 0x4000c
	s_load_b128 s[4:7], s[0:1], 0x0
	s_add_co_i32 s2, s2, 1
	s_and_b32 s3, ttmp6, 15
	s_mul_i32 s2, ttmp9, s2
	s_getreg_b32 s8, hwreg(HW_REG_IB_STS2, 6, 4)
	s_add_co_i32 s3, s3, s2
	s_cmp_eq_u32 s8, 0
	v_mov_b32_e32 v5, 0
	s_cselect_b32 s2, ttmp9, s3
	s_delay_alu instid0(SALU_CYCLE_1) | instskip(SKIP_1) | instid1(VALU_DEP_1)
	v_lshl_or_b32 v1, s2, 8, v0
	s_mov_b32 s2, exec_lo
	v_lshrrev_b32_e32 v4, 7, v1
	s_wait_kmcnt 0x0
	s_delay_alu instid0(VALU_DEP_1)
	v_cmpx_gt_i64_e64 s[4:5], v[4:5]
	s_cbranch_execz .LBB88_31
; %bb.1:
	s_load_b64 s[2:3], s[0:1], 0x20
	v_dual_mov_b32 v22, 3 :: v_dual_lshlrev_b32 v1, 3, v4
	s_wait_kmcnt 0x0
	global_load_b128 v[10:13], v1, s[2:3]
	s_wait_xcnt 0x0
	s_load_b64 s[2:3], s[2:3], 0x0
	s_wait_loadcnt 0x0
	s_wait_kmcnt 0x0
	v_sub_nc_u64_e64 v[6:7], v[12:13], s[2:3]
	v_sub_nc_u64_e64 v[8:9], v[10:11], s[2:3]
	v_cmp_lt_i64_e64 s2, v[12:13], v[10:11]
	s_delay_alu instid0(VALU_DEP_3) | instskip(NEXT) | instid1(VALU_DEP_3)
	v_cmp_gt_i64_e32 vcc_lo, 0, v[6:7]
	v_cmp_lt_i64_e64 s3, -1, v[8:9]
	s_or_b32 s2, vcc_lo, s2
	s_delay_alu instid0(SALU_CYCLE_1) | instskip(SKIP_2) | instid1(SALU_CYCLE_1)
	s_xor_b32 s4, s2, -1
	s_mov_b32 s2, -1
	s_and_b32 s3, s3, s4
	s_and_saveexec_b32 s8, s3
	s_cbranch_execz .LBB88_29
; %bb.2:
	v_and_b32_e32 v0, 0x7f, v0
	v_dual_mov_b32 v1, 0 :: v_dual_mov_b32 v22, 3
	s_mov_b32 s2, 0
	s_mov_b32 s9, exec_lo
	s_delay_alu instid0(VALU_DEP_1) | instskip(NEXT) | instid1(VALU_DEP_1)
	v_add_nc_u64_e32 v[10:11], v[8:9], v[0:1]
	v_cmpx_lt_u64_e64 v[10:11], v[6:7]
	s_cbranch_execz .LBB88_28
; %bb.3:
	s_clause 0x1
	s_load_b256 s[12:19], s[0:1], 0x28
	s_load_b64 s[2:3], s[0:1], 0x18
	v_lshl_add_u64 v[0:1], v[10:11], 3, -8
	s_mov_b32 s5, 0
	s_wait_kmcnt 0x0
	s_cmp_lg_u32 s17, 0
	v_lshl_add_u64 v[2:3], v[10:11], 4, s[2:3]
	v_add_nc_u64_e32 v[12:13], s[14:15], v[0:1]
	v_add_nc_u64_e32 v[14:15], s[12:13], v[0:1]
	s_cselect_b32 s10, -1, 0
	s_cmp_lg_u32 s18, 0
	v_add_nc_u64_e32 v[16:17], 8, v[2:3]
	s_cselect_b32 s11, -1, 0
	s_cmp_lg_u32 s19, 0
	s_mov_b32 s4, s16
	s_cselect_b32 s12, -1, 0
	s_mov_b32 s13, s5
                                        ; implicit-def: $sgpr14
                                        ; implicit-def: $sgpr15
                                        ; implicit-def: $sgpr16
	s_branch .LBB88_10
.LBB88_4:                               ;   in Loop: Header=BB88_10 Depth=1
	s_or_b32 exec_lo, exec_lo, s3
	s_delay_alu instid0(SALU_CYCLE_1)
	s_or_not1_b32 s24, s2, exec_lo
	s_or_not1_b32 s2, s21, exec_lo
.LBB88_5:                               ;   in Loop: Header=BB88_10 Depth=1
	s_or_b32 exec_lo, exec_lo, s22
	s_delay_alu instid0(SALU_CYCLE_1)
	s_or_not1_b32 s3, s24, exec_lo
	s_or_not1_b32 s2, s2, exec_lo
.LBB88_6:                               ;   in Loop: Header=BB88_10 Depth=1
	s_or_b32 exec_lo, exec_lo, s20
	s_delay_alu instid0(SALU_CYCLE_1)
	s_or_not1_b32 s20, s3, exec_lo
	s_or_not1_b32 s3, s2, exec_lo
.LBB88_7:                               ;   in Loop: Header=BB88_10 Depth=1
	s_or_b32 exec_lo, exec_lo, s19
	s_delay_alu instid0(SALU_CYCLE_1)
	s_or_not1_b32 s19, s20, exec_lo
	s_or_not1_b32 s2, s3, exec_lo
.LBB88_8:                               ;   in Loop: Header=BB88_10 Depth=1
	s_or_b32 exec_lo, exec_lo, s18
	s_delay_alu instid0(SALU_CYCLE_1)
	s_and_not1_b32 s3, s16, exec_lo
	s_and_b32 s16, s19, exec_lo
	s_and_not1_b32 s15, s15, exec_lo
	s_and_b32 s2, s2, exec_lo
	s_or_b32 s16, s3, s16
	s_or_b32 s15, s15, s2
.LBB88_9:                               ;   in Loop: Header=BB88_10 Depth=1
	s_or_b32 exec_lo, exec_lo, s17
	s_delay_alu instid0(SALU_CYCLE_1) | instskip(NEXT) | instid1(SALU_CYCLE_1)
	s_and_b32 s2, exec_lo, s15
	s_or_b32 s13, s2, s13
	s_and_not1_b32 s2, s14, exec_lo
	s_and_b32 s3, s16, exec_lo
	s_delay_alu instid0(SALU_CYCLE_1)
	s_or_b32 s14, s2, s3
	s_and_not1_b32 exec_lo, exec_lo, s13
	s_cbranch_execz .LBB88_27
.LBB88_10:                              ; =>This Inner Loop Header: Depth=1
	global_load_b64 v[18:19], v[14:15], off offset:8
	v_mov_b32_e32 v22, 4
	s_or_b32 s16, s16, exec_lo
	s_or_b32 s15, s15, exec_lo
	s_wait_loadcnt 0x0
	v_sub_nc_u64_e64 v[20:21], v[18:19], s[4:5]
	s_delay_alu instid0(VALU_DEP_1) | instskip(SKIP_2) | instid1(SALU_CYCLE_1)
	v_cmp_lt_i64_e32 vcc_lo, -1, v[20:21]
	v_cmp_gt_i64_e64 s2, s[6:7], v[20:21]
	s_and_b32 s2, vcc_lo, s2
	s_and_saveexec_b32 s17, s2
	s_cbranch_execz .LBB88_9
; %bb.11:                               ;   in Loop: Header=BB88_10 Depth=1
	v_cmp_le_i64_e64 s21, v[10:11], v[8:9]
	v_mov_b32_e32 v22, 4
	s_mov_b32 s18, exec_lo
	s_mov_b32 s3, s21
	v_cmpx_gt_i64_e64 v[10:11], v[8:9]
	s_cbranch_execz .LBB88_13
; %bb.12:                               ;   in Loop: Header=BB88_10 Depth=1
	global_load_b128 v[0:3], v[12:13], off
	s_wait_loadcnt 0x0
	v_sub_nc_u64_e64 v[22:23], v[0:1], s[4:5]
	v_cmp_ne_u64_e64 s3, v[2:3], v[0:1]
	s_delay_alu instid0(VALU_DEP_2) | instskip(SKIP_3) | instid1(SALU_CYCLE_1)
	v_cmp_lt_i64_e32 vcc_lo, -1, v[22:23]
	v_cmp_gt_i64_e64 s2, s[6:7], v[22:23]
	v_mov_b32_e32 v22, 5
	s_and_b32 s2, vcc_lo, s2
	s_xor_b32 s2, s2, -1
	s_delay_alu instid0(SALU_CYCLE_1) | instskip(SKIP_2) | instid1(SALU_CYCLE_1)
	s_or_b32 s2, s3, s2
	s_and_not1_b32 s3, s21, exec_lo
	s_and_b32 s2, s2, exec_lo
	s_or_b32 s3, s3, s2
.LBB88_13:                              ;   in Loop: Header=BB88_10 Depth=1
	s_or_b32 exec_lo, exec_lo, s18
	s_mov_b32 s2, -1
	s_mov_b32 s19, -1
	s_and_saveexec_b32 s18, s3
	s_cbranch_execz .LBB88_8
; %bb.14:                               ;   in Loop: Header=BB88_10 Depth=1
	global_load_b128 v[0:3], v[16:17], off offset:-8
	v_mov_b32_e32 v22, 1
	s_mov_b32 s3, -1
	s_mov_b32 s20, -1
	s_wait_loadcnt 0x0
	v_cmp_neq_f64_e32 vcc_lo, 0x7ff00000, v[0:1]
	v_cmp_neq_f64_e64 s2, 0x7ff00000, v[2:3]
	s_and_b32 s2, vcc_lo, s2
	s_delay_alu instid0(SALU_CYCLE_1)
	s_and_saveexec_b32 s19, s2
	s_cbranch_execz .LBB88_7
; %bb.15:                               ;   in Loop: Header=BB88_10 Depth=1
	v_mov_b32_e32 v22, 2
	s_mov_b32 s2, -1
	s_mov_b32 s20, exec_lo
	v_cmpx_o_f64_e32 v[0:1], v[2:3]
	s_cbranch_execz .LBB88_6
; %bb.16:                               ;   in Loop: Header=BB88_10 Depth=1
	s_and_b32 vcc_lo, exec_lo, s10
	s_cbranch_vccz .LBB88_19
; %bb.17:                               ;   in Loop: Header=BB88_10 Depth=1
	s_and_b32 vcc_lo, exec_lo, s11
	s_cbranch_vccz .LBB88_20
; %bb.18:                               ;   in Loop: Header=BB88_10 Depth=1
	v_cmp_ge_i64_e32 vcc_lo, v[20:21], v[4:5]
	s_mov_b32 s3, 7
	s_and_b32 s23, vcc_lo, exec_lo
	s_cbranch_execz .LBB88_21
	s_branch .LBB88_22
.LBB88_19:                              ;   in Loop: Header=BB88_10 Depth=1
	s_mov_b32 s3, 2
	s_mov_b32 s23, -1
	s_branch .LBB88_22
.LBB88_20:                              ;   in Loop: Header=BB88_10 Depth=1
	s_mov_b32 s23, 0
	s_mov_b32 s3, 2
.LBB88_21:                              ;   in Loop: Header=BB88_10 Depth=1
	v_cmp_le_i64_e32 vcc_lo, v[20:21], v[4:5]
	s_and_not1_b32 s22, s23, exec_lo
	s_mov_b32 s3, 7
	s_and_b32 s23, vcc_lo, exec_lo
	s_delay_alu instid0(SALU_CYCLE_1)
	s_or_b32 s23, s22, s23
.LBB88_22:                              ;   in Loop: Header=BB88_10 Depth=1
	v_mov_b32_e32 v22, s3
	s_mov_b32 s24, -1
	s_and_saveexec_b32 s22, s23
	s_cbranch_execz .LBB88_5
; %bb.23:                               ;   in Loop: Header=BB88_10 Depth=1
	v_mov_b32_e32 v22, s3
	s_nor_b32 s2, s12, s21
	s_mov_b32 s21, -1
	s_and_saveexec_b32 s23, s2
	s_cbranch_execz .LBB88_25
; %bb.24:                               ;   in Loop: Header=BB88_10 Depth=1
	global_load_b64 v[0:1], v[14:15], off
	v_mov_b32_e32 v22, 6
	s_wait_loadcnt 0x0
	v_sub_nc_u64_e64 v[2:3], v[0:1], s[4:5]
	v_cmp_gt_i64_e64 s3, v[18:19], v[0:1]
	s_delay_alu instid0(VALU_DEP_2) | instskip(SKIP_2) | instid1(SALU_CYCLE_1)
	v_cmp_lt_i64_e32 vcc_lo, -1, v[2:3]
	v_cmp_gt_i64_e64 s2, s[6:7], v[2:3]
	s_and_b32 s2, vcc_lo, s2
	s_xor_b32 s2, s2, -1
	s_delay_alu instid0(SALU_CYCLE_1) | instskip(NEXT) | instid1(SALU_CYCLE_1)
	s_or_b32 s2, s3, s2
	s_or_not1_b32 s24, s2, exec_lo
.LBB88_25:                              ;   in Loop: Header=BB88_10 Depth=1
	s_or_b32 exec_lo, exec_lo, s23
	s_mov_b32 s2, -1
	s_and_saveexec_b32 s3, s24
	s_cbranch_execz .LBB88_4
; %bb.26:                               ;   in Loop: Header=BB88_10 Depth=1
	v_add_nc_u64_e32 v[10:11], 0x80, v[10:11]
	v_add_nc_u64_e32 v[12:13], 0x400, v[12:13]
	;; [unrolled: 1-line block ×4, first 2 shown]
	s_xor_b32 s2, exec_lo, -1
	s_delay_alu instid0(VALU_DEP_4)
	v_cmp_ge_i64_e32 vcc_lo, v[10:11], v[6:7]
	s_or_not1_b32 s21, vcc_lo, exec_lo
	s_branch .LBB88_4
.LBB88_27:
	s_or_b32 exec_lo, exec_lo, s13
	s_delay_alu instid0(SALU_CYCLE_1)
	s_and_b32 s2, s14, exec_lo
.LBB88_28:
	s_or_b32 exec_lo, exec_lo, s9
	s_delay_alu instid0(SALU_CYCLE_1)
	s_or_not1_b32 s2, s2, exec_lo
.LBB88_29:
	s_or_b32 exec_lo, exec_lo, s8
	s_delay_alu instid0(SALU_CYCLE_1)
	s_and_b32 exec_lo, exec_lo, s2
	s_cbranch_execz .LBB88_31
; %bb.30:
	s_load_b64 s[0:1], s[0:1], 0x48
	v_mov_b32_e32 v0, 0
	s_wait_kmcnt 0x0
	global_store_b32 v0, v22, s[0:1]
.LBB88_31:
	s_endpgm
	.section	.rodata,"a",@progbits
	.p2align	6, 0x0
	.amdhsa_kernel _ZN9rocsparseL23check_matrix_csr_deviceILj256ELj128E21rocsparse_complex_numIdEllEEvT3_S3_T2_PKT1_PKS4_PKS3_SB_21rocsparse_index_base_22rocsparse_matrix_type_20rocsparse_fill_mode_23rocsparse_storage_mode_P22rocsparse_data_status_
		.amdhsa_group_segment_fixed_size 0
		.amdhsa_private_segment_fixed_size 0
		.amdhsa_kernarg_size 80
		.amdhsa_user_sgpr_count 2
		.amdhsa_user_sgpr_dispatch_ptr 0
		.amdhsa_user_sgpr_queue_ptr 0
		.amdhsa_user_sgpr_kernarg_segment_ptr 1
		.amdhsa_user_sgpr_dispatch_id 0
		.amdhsa_user_sgpr_kernarg_preload_length 0
		.amdhsa_user_sgpr_kernarg_preload_offset 0
		.amdhsa_user_sgpr_private_segment_size 0
		.amdhsa_wavefront_size32 1
		.amdhsa_uses_dynamic_stack 0
		.amdhsa_enable_private_segment 0
		.amdhsa_system_sgpr_workgroup_id_x 1
		.amdhsa_system_sgpr_workgroup_id_y 0
		.amdhsa_system_sgpr_workgroup_id_z 0
		.amdhsa_system_sgpr_workgroup_info 0
		.amdhsa_system_vgpr_workitem_id 0
		.amdhsa_next_free_vgpr 24
		.amdhsa_next_free_sgpr 25
		.amdhsa_named_barrier_count 0
		.amdhsa_reserve_vcc 1
		.amdhsa_float_round_mode_32 0
		.amdhsa_float_round_mode_16_64 0
		.amdhsa_float_denorm_mode_32 3
		.amdhsa_float_denorm_mode_16_64 3
		.amdhsa_fp16_overflow 0
		.amdhsa_memory_ordered 1
		.amdhsa_forward_progress 1
		.amdhsa_inst_pref_size 9
		.amdhsa_round_robin_scheduling 0
		.amdhsa_exception_fp_ieee_invalid_op 0
		.amdhsa_exception_fp_denorm_src 0
		.amdhsa_exception_fp_ieee_div_zero 0
		.amdhsa_exception_fp_ieee_overflow 0
		.amdhsa_exception_fp_ieee_underflow 0
		.amdhsa_exception_fp_ieee_inexact 0
		.amdhsa_exception_int_div_zero 0
	.end_amdhsa_kernel
	.section	.text._ZN9rocsparseL23check_matrix_csr_deviceILj256ELj128E21rocsparse_complex_numIdEllEEvT3_S3_T2_PKT1_PKS4_PKS3_SB_21rocsparse_index_base_22rocsparse_matrix_type_20rocsparse_fill_mode_23rocsparse_storage_mode_P22rocsparse_data_status_,"axG",@progbits,_ZN9rocsparseL23check_matrix_csr_deviceILj256ELj128E21rocsparse_complex_numIdEllEEvT3_S3_T2_PKT1_PKS4_PKS3_SB_21rocsparse_index_base_22rocsparse_matrix_type_20rocsparse_fill_mode_23rocsparse_storage_mode_P22rocsparse_data_status_,comdat
.Lfunc_end88:
	.size	_ZN9rocsparseL23check_matrix_csr_deviceILj256ELj128E21rocsparse_complex_numIdEllEEvT3_S3_T2_PKT1_PKS4_PKS3_SB_21rocsparse_index_base_22rocsparse_matrix_type_20rocsparse_fill_mode_23rocsparse_storage_mode_P22rocsparse_data_status_, .Lfunc_end88-_ZN9rocsparseL23check_matrix_csr_deviceILj256ELj128E21rocsparse_complex_numIdEllEEvT3_S3_T2_PKT1_PKS4_PKS3_SB_21rocsparse_index_base_22rocsparse_matrix_type_20rocsparse_fill_mode_23rocsparse_storage_mode_P22rocsparse_data_status_
                                        ; -- End function
	.set _ZN9rocsparseL23check_matrix_csr_deviceILj256ELj128E21rocsparse_complex_numIdEllEEvT3_S3_T2_PKT1_PKS4_PKS3_SB_21rocsparse_index_base_22rocsparse_matrix_type_20rocsparse_fill_mode_23rocsparse_storage_mode_P22rocsparse_data_status_.num_vgpr, 24
	.set _ZN9rocsparseL23check_matrix_csr_deviceILj256ELj128E21rocsparse_complex_numIdEllEEvT3_S3_T2_PKT1_PKS4_PKS3_SB_21rocsparse_index_base_22rocsparse_matrix_type_20rocsparse_fill_mode_23rocsparse_storage_mode_P22rocsparse_data_status_.num_agpr, 0
	.set _ZN9rocsparseL23check_matrix_csr_deviceILj256ELj128E21rocsparse_complex_numIdEllEEvT3_S3_T2_PKT1_PKS4_PKS3_SB_21rocsparse_index_base_22rocsparse_matrix_type_20rocsparse_fill_mode_23rocsparse_storage_mode_P22rocsparse_data_status_.numbered_sgpr, 25
	.set _ZN9rocsparseL23check_matrix_csr_deviceILj256ELj128E21rocsparse_complex_numIdEllEEvT3_S3_T2_PKT1_PKS4_PKS3_SB_21rocsparse_index_base_22rocsparse_matrix_type_20rocsparse_fill_mode_23rocsparse_storage_mode_P22rocsparse_data_status_.num_named_barrier, 0
	.set _ZN9rocsparseL23check_matrix_csr_deviceILj256ELj128E21rocsparse_complex_numIdEllEEvT3_S3_T2_PKT1_PKS4_PKS3_SB_21rocsparse_index_base_22rocsparse_matrix_type_20rocsparse_fill_mode_23rocsparse_storage_mode_P22rocsparse_data_status_.private_seg_size, 0
	.set _ZN9rocsparseL23check_matrix_csr_deviceILj256ELj128E21rocsparse_complex_numIdEllEEvT3_S3_T2_PKT1_PKS4_PKS3_SB_21rocsparse_index_base_22rocsparse_matrix_type_20rocsparse_fill_mode_23rocsparse_storage_mode_P22rocsparse_data_status_.uses_vcc, 1
	.set _ZN9rocsparseL23check_matrix_csr_deviceILj256ELj128E21rocsparse_complex_numIdEllEEvT3_S3_T2_PKT1_PKS4_PKS3_SB_21rocsparse_index_base_22rocsparse_matrix_type_20rocsparse_fill_mode_23rocsparse_storage_mode_P22rocsparse_data_status_.uses_flat_scratch, 0
	.set _ZN9rocsparseL23check_matrix_csr_deviceILj256ELj128E21rocsparse_complex_numIdEllEEvT3_S3_T2_PKT1_PKS4_PKS3_SB_21rocsparse_index_base_22rocsparse_matrix_type_20rocsparse_fill_mode_23rocsparse_storage_mode_P22rocsparse_data_status_.has_dyn_sized_stack, 0
	.set _ZN9rocsparseL23check_matrix_csr_deviceILj256ELj128E21rocsparse_complex_numIdEllEEvT3_S3_T2_PKT1_PKS4_PKS3_SB_21rocsparse_index_base_22rocsparse_matrix_type_20rocsparse_fill_mode_23rocsparse_storage_mode_P22rocsparse_data_status_.has_recursion, 0
	.set _ZN9rocsparseL23check_matrix_csr_deviceILj256ELj128E21rocsparse_complex_numIdEllEEvT3_S3_T2_PKT1_PKS4_PKS3_SB_21rocsparse_index_base_22rocsparse_matrix_type_20rocsparse_fill_mode_23rocsparse_storage_mode_P22rocsparse_data_status_.has_indirect_call, 0
	.section	.AMDGPU.csdata,"",@progbits
; Kernel info:
; codeLenInByte = 1088
; TotalNumSgprs: 27
; NumVgprs: 24
; ScratchSize: 0
; MemoryBound: 0
; FloatMode: 240
; IeeeMode: 1
; LDSByteSize: 0 bytes/workgroup (compile time only)
; SGPRBlocks: 0
; VGPRBlocks: 1
; NumSGPRsForWavesPerEU: 27
; NumVGPRsForWavesPerEU: 24
; NamedBarCnt: 0
; Occupancy: 16
; WaveLimiterHint : 0
; COMPUTE_PGM_RSRC2:SCRATCH_EN: 0
; COMPUTE_PGM_RSRC2:USER_SGPR: 2
; COMPUTE_PGM_RSRC2:TRAP_HANDLER: 0
; COMPUTE_PGM_RSRC2:TGID_X_EN: 1
; COMPUTE_PGM_RSRC2:TGID_Y_EN: 0
; COMPUTE_PGM_RSRC2:TGID_Z_EN: 0
; COMPUTE_PGM_RSRC2:TIDIG_COMP_CNT: 0
	.section	.text._ZN9rocsparseL23check_matrix_csr_deviceILj256ELj256E21rocsparse_complex_numIdEllEEvT3_S3_T2_PKT1_PKS4_PKS3_SB_21rocsparse_index_base_22rocsparse_matrix_type_20rocsparse_fill_mode_23rocsparse_storage_mode_P22rocsparse_data_status_,"axG",@progbits,_ZN9rocsparseL23check_matrix_csr_deviceILj256ELj256E21rocsparse_complex_numIdEllEEvT3_S3_T2_PKT1_PKS4_PKS3_SB_21rocsparse_index_base_22rocsparse_matrix_type_20rocsparse_fill_mode_23rocsparse_storage_mode_P22rocsparse_data_status_,comdat
	.globl	_ZN9rocsparseL23check_matrix_csr_deviceILj256ELj256E21rocsparse_complex_numIdEllEEvT3_S3_T2_PKT1_PKS4_PKS3_SB_21rocsparse_index_base_22rocsparse_matrix_type_20rocsparse_fill_mode_23rocsparse_storage_mode_P22rocsparse_data_status_ ; -- Begin function _ZN9rocsparseL23check_matrix_csr_deviceILj256ELj256E21rocsparse_complex_numIdEllEEvT3_S3_T2_PKT1_PKS4_PKS3_SB_21rocsparse_index_base_22rocsparse_matrix_type_20rocsparse_fill_mode_23rocsparse_storage_mode_P22rocsparse_data_status_
	.p2align	8
	.type	_ZN9rocsparseL23check_matrix_csr_deviceILj256ELj256E21rocsparse_complex_numIdEllEEvT3_S3_T2_PKT1_PKS4_PKS3_SB_21rocsparse_index_base_22rocsparse_matrix_type_20rocsparse_fill_mode_23rocsparse_storage_mode_P22rocsparse_data_status_,@function
_ZN9rocsparseL23check_matrix_csr_deviceILj256ELj256E21rocsparse_complex_numIdEllEEvT3_S3_T2_PKT1_PKS4_PKS3_SB_21rocsparse_index_base_22rocsparse_matrix_type_20rocsparse_fill_mode_23rocsparse_storage_mode_P22rocsparse_data_status_: ; @_ZN9rocsparseL23check_matrix_csr_deviceILj256ELj256E21rocsparse_complex_numIdEllEEvT3_S3_T2_PKT1_PKS4_PKS3_SB_21rocsparse_index_base_22rocsparse_matrix_type_20rocsparse_fill_mode_23rocsparse_storage_mode_P22rocsparse_data_status_
; %bb.0:
	s_load_b128 s[4:7], s[0:1], 0x0
	s_bfe_u32 s2, ttmp6, 0x4000c
	s_and_b32 s3, ttmp6, 15
	s_add_co_i32 s2, s2, 1
	s_getreg_b32 s8, hwreg(HW_REG_IB_STS2, 6, 4)
	s_mul_i32 s2, ttmp9, s2
	s_mov_b32 s9, 0
	s_add_co_i32 s3, s3, s2
	s_cmp_eq_u32 s8, 0
	s_cselect_b32 s2, ttmp9, s3
	s_mov_b32 s3, exec_lo
	s_and_b32 s8, s2, 0xffffff
	s_wait_kmcnt 0x0
	v_cmpx_gt_i64_e64 s[4:5], s[8:9]
	s_cbranch_execz .LBB89_31
; %bb.1:
	s_load_b64 s[2:3], s[0:1], 0x20
	v_mov_b64_e32 v[2:3], s[8:9]
	s_delay_alu instid0(VALU_DEP_1)
	v_dual_mov_b32 v20, 3 :: v_dual_lshlrev_b32 v1, 3, v2
	s_wait_kmcnt 0x0
	global_load_b128 v[8:11], v1, s[2:3]
	s_wait_xcnt 0x0
	s_load_b64 s[2:3], s[2:3], 0x0
	s_wait_loadcnt 0x0
	s_wait_kmcnt 0x0
	v_sub_nc_u64_e64 v[4:5], v[10:11], s[2:3]
	v_sub_nc_u64_e64 v[6:7], v[8:9], s[2:3]
	v_cmp_lt_i64_e64 s2, v[10:11], v[8:9]
	s_delay_alu instid0(VALU_DEP_3) | instskip(NEXT) | instid1(VALU_DEP_3)
	v_cmp_gt_i64_e32 vcc_lo, 0, v[4:5]
	v_cmp_lt_i64_e64 s3, -1, v[6:7]
	s_or_b32 s2, vcc_lo, s2
	s_delay_alu instid0(SALU_CYCLE_1) | instskip(SKIP_2) | instid1(SALU_CYCLE_1)
	s_xor_b32 s4, s2, -1
	s_mov_b32 s2, -1
	s_and_b32 s3, s3, s4
	s_and_saveexec_b32 s10, s3
	s_cbranch_execz .LBB89_29
; %bb.2:
	v_dual_mov_b32 v1, 0 :: v_dual_mov_b32 v20, 3
	s_mov_b32 s2, 0
	s_mov_b32 s11, exec_lo
	s_delay_alu instid0(VALU_DEP_1) | instskip(NEXT) | instid1(VALU_DEP_1)
	v_add_nc_u64_e32 v[8:9], v[6:7], v[0:1]
	v_cmpx_lt_u64_e64 v[8:9], v[4:5]
	s_cbranch_execz .LBB89_28
; %bb.3:
	s_clause 0x1
	s_load_b256 s[16:23], s[0:1], 0x28
	s_load_b64 s[2:3], s[0:1], 0x18
	v_lshl_add_u64 v[0:1], v[8:9], 3, -8
	s_mov_b32 s5, 0
	s_delay_alu instid0(SALU_CYCLE_1)
	s_mov_b32 s15, s5
	s_wait_kmcnt 0x0
	s_cmp_lg_u32 s21, 0
	v_lshl_add_u64 v[2:3], v[8:9], 4, s[2:3]
	v_add_nc_u64_e32 v[10:11], s[18:19], v[0:1]
	v_add_nc_u64_e32 v[12:13], s[16:17], v[0:1]
	s_cselect_b32 s12, -1, 0
	s_cmp_lg_u32 s22, 0
	v_add_nc_u64_e32 v[14:15], 8, v[2:3]
	s_cselect_b32 s13, -1, 0
	s_cmp_lg_u32 s23, 0
	s_mov_b32 s4, s20
	s_cselect_b32 s14, -1, 0
                                        ; implicit-def: $sgpr16
                                        ; implicit-def: $sgpr17
                                        ; implicit-def: $sgpr18
	s_branch .LBB89_10
.LBB89_4:                               ;   in Loop: Header=BB89_10 Depth=1
	s_or_b32 exec_lo, exec_lo, s3
	s_delay_alu instid0(SALU_CYCLE_1)
	s_or_not1_b32 s26, s2, exec_lo
	s_or_not1_b32 s2, s23, exec_lo
.LBB89_5:                               ;   in Loop: Header=BB89_10 Depth=1
	s_or_b32 exec_lo, exec_lo, s24
	s_delay_alu instid0(SALU_CYCLE_1)
	s_or_not1_b32 s3, s26, exec_lo
	s_or_not1_b32 s2, s2, exec_lo
.LBB89_6:                               ;   in Loop: Header=BB89_10 Depth=1
	s_or_b32 exec_lo, exec_lo, s22
	s_delay_alu instid0(SALU_CYCLE_1)
	s_or_not1_b32 s22, s3, exec_lo
	s_or_not1_b32 s3, s2, exec_lo
.LBB89_7:                               ;   in Loop: Header=BB89_10 Depth=1
	s_or_b32 exec_lo, exec_lo, s21
	s_delay_alu instid0(SALU_CYCLE_1)
	s_or_not1_b32 s21, s22, exec_lo
	s_or_not1_b32 s2, s3, exec_lo
.LBB89_8:                               ;   in Loop: Header=BB89_10 Depth=1
	s_or_b32 exec_lo, exec_lo, s20
	s_delay_alu instid0(SALU_CYCLE_1)
	s_and_not1_b32 s3, s18, exec_lo
	s_and_b32 s18, s21, exec_lo
	s_and_not1_b32 s17, s17, exec_lo
	s_and_b32 s2, s2, exec_lo
	s_or_b32 s18, s3, s18
	s_or_b32 s17, s17, s2
.LBB89_9:                               ;   in Loop: Header=BB89_10 Depth=1
	s_or_b32 exec_lo, exec_lo, s19
	s_delay_alu instid0(SALU_CYCLE_1) | instskip(NEXT) | instid1(SALU_CYCLE_1)
	s_and_b32 s2, exec_lo, s17
	s_or_b32 s15, s2, s15
	s_and_not1_b32 s2, s16, exec_lo
	s_and_b32 s3, s18, exec_lo
	s_delay_alu instid0(SALU_CYCLE_1)
	s_or_b32 s16, s2, s3
	s_and_not1_b32 exec_lo, exec_lo, s15
	s_cbranch_execz .LBB89_27
.LBB89_10:                              ; =>This Inner Loop Header: Depth=1
	global_load_b64 v[16:17], v[12:13], off offset:8
	v_mov_b32_e32 v20, 4
	s_or_b32 s18, s18, exec_lo
	s_or_b32 s17, s17, exec_lo
	s_wait_loadcnt 0x0
	v_sub_nc_u64_e64 v[18:19], v[16:17], s[4:5]
	s_delay_alu instid0(VALU_DEP_1) | instskip(SKIP_2) | instid1(SALU_CYCLE_1)
	v_cmp_lt_i64_e32 vcc_lo, -1, v[18:19]
	v_cmp_gt_i64_e64 s2, s[6:7], v[18:19]
	s_and_b32 s2, vcc_lo, s2
	s_and_saveexec_b32 s19, s2
	s_cbranch_execz .LBB89_9
; %bb.11:                               ;   in Loop: Header=BB89_10 Depth=1
	v_cmp_le_i64_e64 s23, v[8:9], v[6:7]
	v_mov_b32_e32 v20, 4
	s_mov_b32 s20, exec_lo
	s_mov_b32 s3, s23
	v_cmpx_gt_i64_e64 v[8:9], v[6:7]
	s_cbranch_execz .LBB89_13
; %bb.12:                               ;   in Loop: Header=BB89_10 Depth=1
	global_load_b128 v[0:3], v[10:11], off
	s_wait_loadcnt 0x0
	v_sub_nc_u64_e64 v[20:21], v[0:1], s[4:5]
	v_cmp_ne_u64_e64 s3, v[2:3], v[0:1]
	s_delay_alu instid0(VALU_DEP_2) | instskip(SKIP_3) | instid1(SALU_CYCLE_1)
	v_cmp_lt_i64_e32 vcc_lo, -1, v[20:21]
	v_cmp_gt_i64_e64 s2, s[6:7], v[20:21]
	v_mov_b32_e32 v20, 5
	s_and_b32 s2, vcc_lo, s2
	s_xor_b32 s2, s2, -1
	s_delay_alu instid0(SALU_CYCLE_1) | instskip(SKIP_2) | instid1(SALU_CYCLE_1)
	s_or_b32 s2, s3, s2
	s_and_not1_b32 s3, s23, exec_lo
	s_and_b32 s2, s2, exec_lo
	s_or_b32 s3, s3, s2
.LBB89_13:                              ;   in Loop: Header=BB89_10 Depth=1
	s_or_b32 exec_lo, exec_lo, s20
	s_mov_b32 s2, -1
	s_mov_b32 s21, -1
	s_and_saveexec_b32 s20, s3
	s_cbranch_execz .LBB89_8
; %bb.14:                               ;   in Loop: Header=BB89_10 Depth=1
	global_load_b128 v[0:3], v[14:15], off offset:-8
	v_mov_b32_e32 v20, 1
	s_mov_b32 s3, -1
	s_mov_b32 s22, -1
	s_wait_loadcnt 0x0
	v_cmp_neq_f64_e32 vcc_lo, 0x7ff00000, v[0:1]
	v_cmp_neq_f64_e64 s2, 0x7ff00000, v[2:3]
	s_and_b32 s2, vcc_lo, s2
	s_delay_alu instid0(SALU_CYCLE_1)
	s_and_saveexec_b32 s21, s2
	s_cbranch_execz .LBB89_7
; %bb.15:                               ;   in Loop: Header=BB89_10 Depth=1
	v_mov_b32_e32 v20, 2
	s_mov_b32 s2, -1
	s_mov_b32 s22, exec_lo
	v_cmpx_o_f64_e32 v[0:1], v[2:3]
	s_cbranch_execz .LBB89_6
; %bb.16:                               ;   in Loop: Header=BB89_10 Depth=1
	s_and_b32 vcc_lo, exec_lo, s12
	s_cbranch_vccz .LBB89_19
; %bb.17:                               ;   in Loop: Header=BB89_10 Depth=1
	s_and_b32 vcc_lo, exec_lo, s13
	s_cbranch_vccz .LBB89_20
; %bb.18:                               ;   in Loop: Header=BB89_10 Depth=1
	v_cmp_le_i64_e32 vcc_lo, s[8:9], v[18:19]
	s_mov_b32 s3, 7
	s_and_b32 s25, vcc_lo, exec_lo
	s_cbranch_execz .LBB89_21
	s_branch .LBB89_22
.LBB89_19:                              ;   in Loop: Header=BB89_10 Depth=1
	s_mov_b32 s3, 2
	s_mov_b32 s25, -1
	s_branch .LBB89_22
.LBB89_20:                              ;   in Loop: Header=BB89_10 Depth=1
	s_mov_b32 s25, 0
	s_mov_b32 s3, 2
.LBB89_21:                              ;   in Loop: Header=BB89_10 Depth=1
	v_cmp_ge_i64_e32 vcc_lo, s[8:9], v[18:19]
	s_and_not1_b32 s24, s25, exec_lo
	s_mov_b32 s3, 7
	s_and_b32 s25, vcc_lo, exec_lo
	s_delay_alu instid0(SALU_CYCLE_1)
	s_or_b32 s25, s24, s25
.LBB89_22:                              ;   in Loop: Header=BB89_10 Depth=1
	v_mov_b32_e32 v20, s3
	s_mov_b32 s26, -1
	s_and_saveexec_b32 s24, s25
	s_cbranch_execz .LBB89_5
; %bb.23:                               ;   in Loop: Header=BB89_10 Depth=1
	v_mov_b32_e32 v20, s3
	s_nor_b32 s2, s14, s23
	s_mov_b32 s23, -1
	s_and_saveexec_b32 s25, s2
	s_cbranch_execz .LBB89_25
; %bb.24:                               ;   in Loop: Header=BB89_10 Depth=1
	global_load_b64 v[0:1], v[12:13], off
	v_mov_b32_e32 v20, 6
	s_wait_loadcnt 0x0
	v_sub_nc_u64_e64 v[2:3], v[0:1], s[4:5]
	v_cmp_gt_i64_e64 s3, v[16:17], v[0:1]
	s_delay_alu instid0(VALU_DEP_2) | instskip(SKIP_2) | instid1(SALU_CYCLE_1)
	v_cmp_lt_i64_e32 vcc_lo, -1, v[2:3]
	v_cmp_gt_i64_e64 s2, s[6:7], v[2:3]
	s_and_b32 s2, vcc_lo, s2
	s_xor_b32 s2, s2, -1
	s_delay_alu instid0(SALU_CYCLE_1) | instskip(NEXT) | instid1(SALU_CYCLE_1)
	s_or_b32 s2, s3, s2
	s_or_not1_b32 s26, s2, exec_lo
.LBB89_25:                              ;   in Loop: Header=BB89_10 Depth=1
	s_or_b32 exec_lo, exec_lo, s25
	s_mov_b32 s2, -1
	s_and_saveexec_b32 s3, s26
	s_cbranch_execz .LBB89_4
; %bb.26:                               ;   in Loop: Header=BB89_10 Depth=1
	v_add_nc_u64_e32 v[8:9], 0x100, v[8:9]
	v_add_nc_u64_e32 v[10:11], 0x800, v[10:11]
	;; [unrolled: 1-line block ×4, first 2 shown]
	s_xor_b32 s2, exec_lo, -1
	s_delay_alu instid0(VALU_DEP_4)
	v_cmp_ge_i64_e32 vcc_lo, v[8:9], v[4:5]
	s_or_not1_b32 s23, vcc_lo, exec_lo
	s_branch .LBB89_4
.LBB89_27:
	s_or_b32 exec_lo, exec_lo, s15
	s_delay_alu instid0(SALU_CYCLE_1)
	s_and_b32 s2, s16, exec_lo
.LBB89_28:
	s_or_b32 exec_lo, exec_lo, s11
	s_delay_alu instid0(SALU_CYCLE_1)
	s_or_not1_b32 s2, s2, exec_lo
.LBB89_29:
	s_or_b32 exec_lo, exec_lo, s10
	s_delay_alu instid0(SALU_CYCLE_1)
	s_and_b32 exec_lo, exec_lo, s2
	s_cbranch_execz .LBB89_31
; %bb.30:
	s_load_b64 s[0:1], s[0:1], 0x48
	v_mov_b32_e32 v0, 0
	s_wait_kmcnt 0x0
	global_store_b32 v0, v20, s[0:1]
.LBB89_31:
	s_endpgm
	.section	.rodata,"a",@progbits
	.p2align	6, 0x0
	.amdhsa_kernel _ZN9rocsparseL23check_matrix_csr_deviceILj256ELj256E21rocsparse_complex_numIdEllEEvT3_S3_T2_PKT1_PKS4_PKS3_SB_21rocsparse_index_base_22rocsparse_matrix_type_20rocsparse_fill_mode_23rocsparse_storage_mode_P22rocsparse_data_status_
		.amdhsa_group_segment_fixed_size 0
		.amdhsa_private_segment_fixed_size 0
		.amdhsa_kernarg_size 80
		.amdhsa_user_sgpr_count 2
		.amdhsa_user_sgpr_dispatch_ptr 0
		.amdhsa_user_sgpr_queue_ptr 0
		.amdhsa_user_sgpr_kernarg_segment_ptr 1
		.amdhsa_user_sgpr_dispatch_id 0
		.amdhsa_user_sgpr_kernarg_preload_length 0
		.amdhsa_user_sgpr_kernarg_preload_offset 0
		.amdhsa_user_sgpr_private_segment_size 0
		.amdhsa_wavefront_size32 1
		.amdhsa_uses_dynamic_stack 0
		.amdhsa_enable_private_segment 0
		.amdhsa_system_sgpr_workgroup_id_x 1
		.amdhsa_system_sgpr_workgroup_id_y 0
		.amdhsa_system_sgpr_workgroup_id_z 0
		.amdhsa_system_sgpr_workgroup_info 0
		.amdhsa_system_vgpr_workitem_id 0
		.amdhsa_next_free_vgpr 22
		.amdhsa_next_free_sgpr 27
		.amdhsa_named_barrier_count 0
		.amdhsa_reserve_vcc 1
		.amdhsa_float_round_mode_32 0
		.amdhsa_float_round_mode_16_64 0
		.amdhsa_float_denorm_mode_32 3
		.amdhsa_float_denorm_mode_16_64 3
		.amdhsa_fp16_overflow 0
		.amdhsa_memory_ordered 1
		.amdhsa_forward_progress 1
		.amdhsa_inst_pref_size 9
		.amdhsa_round_robin_scheduling 0
		.amdhsa_exception_fp_ieee_invalid_op 0
		.amdhsa_exception_fp_denorm_src 0
		.amdhsa_exception_fp_ieee_div_zero 0
		.amdhsa_exception_fp_ieee_overflow 0
		.amdhsa_exception_fp_ieee_underflow 0
		.amdhsa_exception_fp_ieee_inexact 0
		.amdhsa_exception_int_div_zero 0
	.end_amdhsa_kernel
	.section	.text._ZN9rocsparseL23check_matrix_csr_deviceILj256ELj256E21rocsparse_complex_numIdEllEEvT3_S3_T2_PKT1_PKS4_PKS3_SB_21rocsparse_index_base_22rocsparse_matrix_type_20rocsparse_fill_mode_23rocsparse_storage_mode_P22rocsparse_data_status_,"axG",@progbits,_ZN9rocsparseL23check_matrix_csr_deviceILj256ELj256E21rocsparse_complex_numIdEllEEvT3_S3_T2_PKT1_PKS4_PKS3_SB_21rocsparse_index_base_22rocsparse_matrix_type_20rocsparse_fill_mode_23rocsparse_storage_mode_P22rocsparse_data_status_,comdat
.Lfunc_end89:
	.size	_ZN9rocsparseL23check_matrix_csr_deviceILj256ELj256E21rocsparse_complex_numIdEllEEvT3_S3_T2_PKT1_PKS4_PKS3_SB_21rocsparse_index_base_22rocsparse_matrix_type_20rocsparse_fill_mode_23rocsparse_storage_mode_P22rocsparse_data_status_, .Lfunc_end89-_ZN9rocsparseL23check_matrix_csr_deviceILj256ELj256E21rocsparse_complex_numIdEllEEvT3_S3_T2_PKT1_PKS4_PKS3_SB_21rocsparse_index_base_22rocsparse_matrix_type_20rocsparse_fill_mode_23rocsparse_storage_mode_P22rocsparse_data_status_
                                        ; -- End function
	.set _ZN9rocsparseL23check_matrix_csr_deviceILj256ELj256E21rocsparse_complex_numIdEllEEvT3_S3_T2_PKT1_PKS4_PKS3_SB_21rocsparse_index_base_22rocsparse_matrix_type_20rocsparse_fill_mode_23rocsparse_storage_mode_P22rocsparse_data_status_.num_vgpr, 22
	.set _ZN9rocsparseL23check_matrix_csr_deviceILj256ELj256E21rocsparse_complex_numIdEllEEvT3_S3_T2_PKT1_PKS4_PKS3_SB_21rocsparse_index_base_22rocsparse_matrix_type_20rocsparse_fill_mode_23rocsparse_storage_mode_P22rocsparse_data_status_.num_agpr, 0
	.set _ZN9rocsparseL23check_matrix_csr_deviceILj256ELj256E21rocsparse_complex_numIdEllEEvT3_S3_T2_PKT1_PKS4_PKS3_SB_21rocsparse_index_base_22rocsparse_matrix_type_20rocsparse_fill_mode_23rocsparse_storage_mode_P22rocsparse_data_status_.numbered_sgpr, 27
	.set _ZN9rocsparseL23check_matrix_csr_deviceILj256ELj256E21rocsparse_complex_numIdEllEEvT3_S3_T2_PKT1_PKS4_PKS3_SB_21rocsparse_index_base_22rocsparse_matrix_type_20rocsparse_fill_mode_23rocsparse_storage_mode_P22rocsparse_data_status_.num_named_barrier, 0
	.set _ZN9rocsparseL23check_matrix_csr_deviceILj256ELj256E21rocsparse_complex_numIdEllEEvT3_S3_T2_PKT1_PKS4_PKS3_SB_21rocsparse_index_base_22rocsparse_matrix_type_20rocsparse_fill_mode_23rocsparse_storage_mode_P22rocsparse_data_status_.private_seg_size, 0
	.set _ZN9rocsparseL23check_matrix_csr_deviceILj256ELj256E21rocsparse_complex_numIdEllEEvT3_S3_T2_PKT1_PKS4_PKS3_SB_21rocsparse_index_base_22rocsparse_matrix_type_20rocsparse_fill_mode_23rocsparse_storage_mode_P22rocsparse_data_status_.uses_vcc, 1
	.set _ZN9rocsparseL23check_matrix_csr_deviceILj256ELj256E21rocsparse_complex_numIdEllEEvT3_S3_T2_PKT1_PKS4_PKS3_SB_21rocsparse_index_base_22rocsparse_matrix_type_20rocsparse_fill_mode_23rocsparse_storage_mode_P22rocsparse_data_status_.uses_flat_scratch, 0
	.set _ZN9rocsparseL23check_matrix_csr_deviceILj256ELj256E21rocsparse_complex_numIdEllEEvT3_S3_T2_PKT1_PKS4_PKS3_SB_21rocsparse_index_base_22rocsparse_matrix_type_20rocsparse_fill_mode_23rocsparse_storage_mode_P22rocsparse_data_status_.has_dyn_sized_stack, 0
	.set _ZN9rocsparseL23check_matrix_csr_deviceILj256ELj256E21rocsparse_complex_numIdEllEEvT3_S3_T2_PKT1_PKS4_PKS3_SB_21rocsparse_index_base_22rocsparse_matrix_type_20rocsparse_fill_mode_23rocsparse_storage_mode_P22rocsparse_data_status_.has_recursion, 0
	.set _ZN9rocsparseL23check_matrix_csr_deviceILj256ELj256E21rocsparse_complex_numIdEllEEvT3_S3_T2_PKT1_PKS4_PKS3_SB_21rocsparse_index_base_22rocsparse_matrix_type_20rocsparse_fill_mode_23rocsparse_storage_mode_P22rocsparse_data_status_.has_indirect_call, 0
	.section	.AMDGPU.csdata,"",@progbits
; Kernel info:
; codeLenInByte = 1080
; TotalNumSgprs: 29
; NumVgprs: 22
; ScratchSize: 0
; MemoryBound: 0
; FloatMode: 240
; IeeeMode: 1
; LDSByteSize: 0 bytes/workgroup (compile time only)
; SGPRBlocks: 0
; VGPRBlocks: 1
; NumSGPRsForWavesPerEU: 29
; NumVGPRsForWavesPerEU: 22
; NamedBarCnt: 0
; Occupancy: 16
; WaveLimiterHint : 0
; COMPUTE_PGM_RSRC2:SCRATCH_EN: 0
; COMPUTE_PGM_RSRC2:USER_SGPR: 2
; COMPUTE_PGM_RSRC2:TRAP_HANDLER: 0
; COMPUTE_PGM_RSRC2:TGID_X_EN: 1
; COMPUTE_PGM_RSRC2:TGID_Y_EN: 0
; COMPUTE_PGM_RSRC2:TGID_Z_EN: 0
; COMPUTE_PGM_RSRC2:TIDIG_COMP_CNT: 0
	.section	.AMDGPU.gpr_maximums,"",@progbits
	.set amdgpu.max_num_vgpr, 0
	.set amdgpu.max_num_agpr, 0
	.set amdgpu.max_num_sgpr, 0
	.section	.AMDGPU.csdata,"",@progbits
	.type	__hip_cuid_d0dc559872f8413b,@object ; @__hip_cuid_d0dc559872f8413b
	.section	.bss,"aw",@nobits
	.globl	__hip_cuid_d0dc559872f8413b
__hip_cuid_d0dc559872f8413b:
	.byte	0                               ; 0x0
	.size	__hip_cuid_d0dc559872f8413b, 1

	.ident	"AMD clang version 22.0.0git (https://github.com/RadeonOpenCompute/llvm-project roc-7.2.4 26084 f58b06dce1f9c15707c5f808fd002e18c2accf7e)"
	.section	".note.GNU-stack","",@progbits
	.addrsig
	.addrsig_sym __hip_cuid_d0dc559872f8413b
	.amdgpu_metadata
---
amdhsa.kernels:
  - .args:
      - .offset:         0
        .size:           4
        .value_kind:     by_value
      - .actual_access:  read_only
        .address_space:  global
        .offset:         8
        .size:           8
        .value_kind:     global_buffer
      - .address_space:  global
        .offset:         16
        .size:           8
        .value_kind:     global_buffer
    .group_segment_fixed_size: 0
    .kernarg_segment_align: 8
    .kernarg_segment_size: 24
    .language:       OpenCL C
    .language_version:
      - 2
      - 0
    .max_flat_workgroup_size: 256
    .name:           _ZN9rocsparseL19check_row_ptr_arrayILj256EiiEEvT1_PKT0_P22rocsparse_data_status_
    .private_segment_fixed_size: 0
    .sgpr_count:     8
    .sgpr_spill_count: 0
    .symbol:         _ZN9rocsparseL19check_row_ptr_arrayILj256EiiEEvT1_PKT0_P22rocsparse_data_status_.kd
    .uniform_work_group_size: 1
    .uses_dynamic_stack: false
    .vgpr_count:     3
    .vgpr_spill_count: 0
    .wavefront_size: 32
  - .args:
      - .offset:         0
        .size:           4
        .value_kind:     by_value
      - .actual_access:  read_only
        .address_space:  global
        .offset:         8
        .size:           8
        .value_kind:     global_buffer
      - .actual_access:  write_only
        .address_space:  global
        .offset:         16
        .size:           8
        .value_kind:     global_buffer
    .group_segment_fixed_size: 0
    .kernarg_segment_align: 8
    .kernarg_segment_size: 24
    .language:       OpenCL C
    .language_version:
      - 2
      - 0
    .max_flat_workgroup_size: 512
    .name:           _ZN9rocsparseL20shift_offsets_kernelILj512EiiEEvT1_PKT0_PS2_
    .private_segment_fixed_size: 0
    .sgpr_count:     10
    .sgpr_spill_count: 0
    .symbol:         _ZN9rocsparseL20shift_offsets_kernelILj512EiiEEvT1_PKT0_PS2_.kd
    .uniform_work_group_size: 1
    .uses_dynamic_stack: false
    .vgpr_count:     2
    .vgpr_spill_count: 0
    .wavefront_size: 32
  - .args:
      - .offset:         0
        .size:           4
        .value_kind:     by_value
      - .offset:         4
        .size:           4
        .value_kind:     by_value
      - .offset:         8
        .size:           4
        .value_kind:     by_value
      - .actual_access:  read_only
        .address_space:  global
        .offset:         16
        .size:           8
        .value_kind:     global_buffer
      - .actual_access:  read_only
        .address_space:  global
        .offset:         24
        .size:           8
        .value_kind:     global_buffer
      - .address_space:  global
        .offset:         32
        .size:           8
        .value_kind:     global_buffer
      - .address_space:  global
        .offset:         40
        .size:           8
        .value_kind:     global_buffer
      - .offset:         48
        .size:           4
        .value_kind:     by_value
      - .offset:         52
        .size:           4
        .value_kind:     by_value
      - .offset:         56
        .size:           4
        .value_kind:     by_value
      - .offset:         60
        .size:           4
        .value_kind:     by_value
      - .address_space:  global
        .offset:         64
        .size:           8
        .value_kind:     global_buffer
    .group_segment_fixed_size: 0
    .kernarg_segment_align: 8
    .kernarg_segment_size: 72
    .language:       OpenCL C
    .language_version:
      - 2
      - 0
    .max_flat_workgroup_size: 256
    .name:           _ZN9rocsparseL23check_matrix_csr_deviceILj256ELj4EfiiEEvT3_S1_T2_PKT1_PKS2_PKS1_S9_21rocsparse_index_base_22rocsparse_matrix_type_20rocsparse_fill_mode_23rocsparse_storage_mode_P22rocsparse_data_status_
    .private_segment_fixed_size: 0
    .sgpr_count:     31
    .sgpr_spill_count: 0
    .symbol:         _ZN9rocsparseL23check_matrix_csr_deviceILj256ELj4EfiiEEvT3_S1_T2_PKT1_PKS2_PKS1_S9_21rocsparse_index_base_22rocsparse_matrix_type_20rocsparse_fill_mode_23rocsparse_storage_mode_P22rocsparse_data_status_.kd
    .uniform_work_group_size: 1
    .uses_dynamic_stack: false
    .vgpr_count:     10
    .vgpr_spill_count: 0
    .wavefront_size: 32
  - .args:
      - .offset:         0
        .size:           4
        .value_kind:     by_value
      - .offset:         4
        .size:           4
        .value_kind:     by_value
      - .offset:         8
        .size:           4
        .value_kind:     by_value
      - .actual_access:  read_only
        .address_space:  global
        .offset:         16
        .size:           8
        .value_kind:     global_buffer
      - .actual_access:  read_only
        .address_space:  global
        .offset:         24
        .size:           8
        .value_kind:     global_buffer
      - .address_space:  global
        .offset:         32
        .size:           8
        .value_kind:     global_buffer
      - .address_space:  global
        .offset:         40
        .size:           8
        .value_kind:     global_buffer
      - .offset:         48
        .size:           4
        .value_kind:     by_value
      - .offset:         52
        .size:           4
        .value_kind:     by_value
      - .offset:         56
        .size:           4
        .value_kind:     by_value
      - .offset:         60
        .size:           4
        .value_kind:     by_value
      - .address_space:  global
        .offset:         64
        .size:           8
        .value_kind:     global_buffer
    .group_segment_fixed_size: 0
    .kernarg_segment_align: 8
    .kernarg_segment_size: 72
    .language:       OpenCL C
    .language_version:
      - 2
      - 0
    .max_flat_workgroup_size: 256
    .name:           _ZN9rocsparseL23check_matrix_csr_deviceILj256ELj8EfiiEEvT3_S1_T2_PKT1_PKS2_PKS1_S9_21rocsparse_index_base_22rocsparse_matrix_type_20rocsparse_fill_mode_23rocsparse_storage_mode_P22rocsparse_data_status_
    .private_segment_fixed_size: 0
    .sgpr_count:     31
    .sgpr_spill_count: 0
    .symbol:         _ZN9rocsparseL23check_matrix_csr_deviceILj256ELj8EfiiEEvT3_S1_T2_PKT1_PKS2_PKS1_S9_21rocsparse_index_base_22rocsparse_matrix_type_20rocsparse_fill_mode_23rocsparse_storage_mode_P22rocsparse_data_status_.kd
    .uniform_work_group_size: 1
    .uses_dynamic_stack: false
    .vgpr_count:     10
    .vgpr_spill_count: 0
    .wavefront_size: 32
  - .args:
      - .offset:         0
        .size:           4
        .value_kind:     by_value
      - .offset:         4
        .size:           4
        .value_kind:     by_value
      - .offset:         8
        .size:           4
        .value_kind:     by_value
      - .actual_access:  read_only
        .address_space:  global
        .offset:         16
        .size:           8
        .value_kind:     global_buffer
      - .actual_access:  read_only
        .address_space:  global
        .offset:         24
        .size:           8
        .value_kind:     global_buffer
      - .address_space:  global
        .offset:         32
        .size:           8
        .value_kind:     global_buffer
      - .address_space:  global
        .offset:         40
        .size:           8
        .value_kind:     global_buffer
      - .offset:         48
        .size:           4
        .value_kind:     by_value
      - .offset:         52
        .size:           4
        .value_kind:     by_value
      - .offset:         56
        .size:           4
        .value_kind:     by_value
      - .offset:         60
        .size:           4
        .value_kind:     by_value
      - .address_space:  global
        .offset:         64
        .size:           8
        .value_kind:     global_buffer
    .group_segment_fixed_size: 0
    .kernarg_segment_align: 8
    .kernarg_segment_size: 72
    .language:       OpenCL C
    .language_version:
      - 2
      - 0
    .max_flat_workgroup_size: 256
    .name:           _ZN9rocsparseL23check_matrix_csr_deviceILj256ELj16EfiiEEvT3_S1_T2_PKT1_PKS2_PKS1_S9_21rocsparse_index_base_22rocsparse_matrix_type_20rocsparse_fill_mode_23rocsparse_storage_mode_P22rocsparse_data_status_
    .private_segment_fixed_size: 0
    .sgpr_count:     31
    .sgpr_spill_count: 0
    .symbol:         _ZN9rocsparseL23check_matrix_csr_deviceILj256ELj16EfiiEEvT3_S1_T2_PKT1_PKS2_PKS1_S9_21rocsparse_index_base_22rocsparse_matrix_type_20rocsparse_fill_mode_23rocsparse_storage_mode_P22rocsparse_data_status_.kd
    .uniform_work_group_size: 1
    .uses_dynamic_stack: false
    .vgpr_count:     10
    .vgpr_spill_count: 0
    .wavefront_size: 32
  - .args:
      - .offset:         0
        .size:           4
        .value_kind:     by_value
      - .offset:         4
        .size:           4
        .value_kind:     by_value
      - .offset:         8
        .size:           4
        .value_kind:     by_value
      - .actual_access:  read_only
        .address_space:  global
        .offset:         16
        .size:           8
        .value_kind:     global_buffer
      - .actual_access:  read_only
        .address_space:  global
        .offset:         24
        .size:           8
        .value_kind:     global_buffer
      - .address_space:  global
        .offset:         32
        .size:           8
        .value_kind:     global_buffer
      - .address_space:  global
        .offset:         40
        .size:           8
        .value_kind:     global_buffer
      - .offset:         48
        .size:           4
        .value_kind:     by_value
      - .offset:         52
        .size:           4
        .value_kind:     by_value
      - .offset:         56
        .size:           4
        .value_kind:     by_value
      - .offset:         60
        .size:           4
        .value_kind:     by_value
      - .address_space:  global
        .offset:         64
        .size:           8
        .value_kind:     global_buffer
    .group_segment_fixed_size: 0
    .kernarg_segment_align: 8
    .kernarg_segment_size: 72
    .language:       OpenCL C
    .language_version:
      - 2
      - 0
    .max_flat_workgroup_size: 256
    .name:           _ZN9rocsparseL23check_matrix_csr_deviceILj256ELj32EfiiEEvT3_S1_T2_PKT1_PKS2_PKS1_S9_21rocsparse_index_base_22rocsparse_matrix_type_20rocsparse_fill_mode_23rocsparse_storage_mode_P22rocsparse_data_status_
    .private_segment_fixed_size: 0
    .sgpr_count:     31
    .sgpr_spill_count: 0
    .symbol:         _ZN9rocsparseL23check_matrix_csr_deviceILj256ELj32EfiiEEvT3_S1_T2_PKT1_PKS2_PKS1_S9_21rocsparse_index_base_22rocsparse_matrix_type_20rocsparse_fill_mode_23rocsparse_storage_mode_P22rocsparse_data_status_.kd
    .uniform_work_group_size: 1
    .uses_dynamic_stack: false
    .vgpr_count:     10
    .vgpr_spill_count: 0
    .wavefront_size: 32
  - .args:
      - .offset:         0
        .size:           4
        .value_kind:     by_value
      - .offset:         4
        .size:           4
        .value_kind:     by_value
      - .offset:         8
        .size:           4
        .value_kind:     by_value
      - .actual_access:  read_only
        .address_space:  global
        .offset:         16
        .size:           8
        .value_kind:     global_buffer
      - .actual_access:  read_only
        .address_space:  global
        .offset:         24
        .size:           8
        .value_kind:     global_buffer
      - .address_space:  global
        .offset:         32
        .size:           8
        .value_kind:     global_buffer
      - .address_space:  global
        .offset:         40
        .size:           8
        .value_kind:     global_buffer
      - .offset:         48
        .size:           4
        .value_kind:     by_value
      - .offset:         52
        .size:           4
        .value_kind:     by_value
      - .offset:         56
        .size:           4
        .value_kind:     by_value
      - .offset:         60
        .size:           4
        .value_kind:     by_value
      - .address_space:  global
        .offset:         64
        .size:           8
        .value_kind:     global_buffer
    .group_segment_fixed_size: 0
    .kernarg_segment_align: 8
    .kernarg_segment_size: 72
    .language:       OpenCL C
    .language_version:
      - 2
      - 0
    .max_flat_workgroup_size: 256
    .name:           _ZN9rocsparseL23check_matrix_csr_deviceILj256ELj64EfiiEEvT3_S1_T2_PKT1_PKS2_PKS1_S9_21rocsparse_index_base_22rocsparse_matrix_type_20rocsparse_fill_mode_23rocsparse_storage_mode_P22rocsparse_data_status_
    .private_segment_fixed_size: 0
    .sgpr_count:     31
    .sgpr_spill_count: 0
    .symbol:         _ZN9rocsparseL23check_matrix_csr_deviceILj256ELj64EfiiEEvT3_S1_T2_PKT1_PKS2_PKS1_S9_21rocsparse_index_base_22rocsparse_matrix_type_20rocsparse_fill_mode_23rocsparse_storage_mode_P22rocsparse_data_status_.kd
    .uniform_work_group_size: 1
    .uses_dynamic_stack: false
    .vgpr_count:     10
    .vgpr_spill_count: 0
    .wavefront_size: 32
  - .args:
      - .offset:         0
        .size:           4
        .value_kind:     by_value
      - .offset:         4
        .size:           4
        .value_kind:     by_value
      - .offset:         8
        .size:           4
        .value_kind:     by_value
      - .actual_access:  read_only
        .address_space:  global
        .offset:         16
        .size:           8
        .value_kind:     global_buffer
      - .actual_access:  read_only
        .address_space:  global
        .offset:         24
        .size:           8
        .value_kind:     global_buffer
      - .address_space:  global
        .offset:         32
        .size:           8
        .value_kind:     global_buffer
      - .address_space:  global
        .offset:         40
        .size:           8
        .value_kind:     global_buffer
      - .offset:         48
        .size:           4
        .value_kind:     by_value
      - .offset:         52
        .size:           4
        .value_kind:     by_value
      - .offset:         56
        .size:           4
        .value_kind:     by_value
      - .offset:         60
        .size:           4
        .value_kind:     by_value
      - .address_space:  global
        .offset:         64
        .size:           8
        .value_kind:     global_buffer
    .group_segment_fixed_size: 0
    .kernarg_segment_align: 8
    .kernarg_segment_size: 72
    .language:       OpenCL C
    .language_version:
      - 2
      - 0
    .max_flat_workgroup_size: 256
    .name:           _ZN9rocsparseL23check_matrix_csr_deviceILj256ELj128EfiiEEvT3_S1_T2_PKT1_PKS2_PKS1_S9_21rocsparse_index_base_22rocsparse_matrix_type_20rocsparse_fill_mode_23rocsparse_storage_mode_P22rocsparse_data_status_
    .private_segment_fixed_size: 0
    .sgpr_count:     31
    .sgpr_spill_count: 0
    .symbol:         _ZN9rocsparseL23check_matrix_csr_deviceILj256ELj128EfiiEEvT3_S1_T2_PKT1_PKS2_PKS1_S9_21rocsparse_index_base_22rocsparse_matrix_type_20rocsparse_fill_mode_23rocsparse_storage_mode_P22rocsparse_data_status_.kd
    .uniform_work_group_size: 1
    .uses_dynamic_stack: false
    .vgpr_count:     10
    .vgpr_spill_count: 0
    .wavefront_size: 32
  - .args:
      - .offset:         0
        .size:           4
        .value_kind:     by_value
      - .offset:         4
        .size:           4
        .value_kind:     by_value
      - .offset:         8
        .size:           4
        .value_kind:     by_value
      - .actual_access:  read_only
        .address_space:  global
        .offset:         16
        .size:           8
        .value_kind:     global_buffer
      - .actual_access:  read_only
        .address_space:  global
        .offset:         24
        .size:           8
        .value_kind:     global_buffer
      - .address_space:  global
        .offset:         32
        .size:           8
        .value_kind:     global_buffer
      - .address_space:  global
        .offset:         40
        .size:           8
        .value_kind:     global_buffer
      - .offset:         48
        .size:           4
        .value_kind:     by_value
      - .offset:         52
        .size:           4
        .value_kind:     by_value
      - .offset:         56
        .size:           4
        .value_kind:     by_value
      - .offset:         60
        .size:           4
        .value_kind:     by_value
      - .address_space:  global
        .offset:         64
        .size:           8
        .value_kind:     global_buffer
    .group_segment_fixed_size: 0
    .kernarg_segment_align: 8
    .kernarg_segment_size: 72
    .language:       OpenCL C
    .language_version:
      - 2
      - 0
    .max_flat_workgroup_size: 256
    .name:           _ZN9rocsparseL23check_matrix_csr_deviceILj256ELj256EfiiEEvT3_S1_T2_PKT1_PKS2_PKS1_S9_21rocsparse_index_base_22rocsparse_matrix_type_20rocsparse_fill_mode_23rocsparse_storage_mode_P22rocsparse_data_status_
    .private_segment_fixed_size: 0
    .sgpr_count:     32
    .sgpr_spill_count: 0
    .symbol:         _ZN9rocsparseL23check_matrix_csr_deviceILj256ELj256EfiiEEvT3_S1_T2_PKT1_PKS2_PKS1_S9_21rocsparse_index_base_22rocsparse_matrix_type_20rocsparse_fill_mode_23rocsparse_storage_mode_P22rocsparse_data_status_.kd
    .uniform_work_group_size: 1
    .uses_dynamic_stack: false
    .vgpr_count:     10
    .vgpr_spill_count: 0
    .wavefront_size: 32
  - .args:
      - .offset:         0
        .size:           4
        .value_kind:     by_value
      - .offset:         4
        .size:           4
        .value_kind:     by_value
      - .offset:         8
        .size:           4
        .value_kind:     by_value
      - .actual_access:  read_only
        .address_space:  global
        .offset:         16
        .size:           8
        .value_kind:     global_buffer
      - .actual_access:  read_only
        .address_space:  global
        .offset:         24
        .size:           8
        .value_kind:     global_buffer
      - .address_space:  global
        .offset:         32
        .size:           8
        .value_kind:     global_buffer
      - .address_space:  global
        .offset:         40
        .size:           8
        .value_kind:     global_buffer
      - .offset:         48
        .size:           4
        .value_kind:     by_value
      - .offset:         52
        .size:           4
        .value_kind:     by_value
      - .offset:         56
        .size:           4
        .value_kind:     by_value
      - .offset:         60
        .size:           4
        .value_kind:     by_value
      - .address_space:  global
        .offset:         64
        .size:           8
        .value_kind:     global_buffer
    .group_segment_fixed_size: 0
    .kernarg_segment_align: 8
    .kernarg_segment_size: 72
    .language:       OpenCL C
    .language_version:
      - 2
      - 0
    .max_flat_workgroup_size: 256
    .name:           _ZN9rocsparseL23check_matrix_csr_deviceILj256ELj4EdiiEEvT3_S1_T2_PKT1_PKS2_PKS1_S9_21rocsparse_index_base_22rocsparse_matrix_type_20rocsparse_fill_mode_23rocsparse_storage_mode_P22rocsparse_data_status_
    .private_segment_fixed_size: 0
    .sgpr_count:     31
    .sgpr_spill_count: 0
    .symbol:         _ZN9rocsparseL23check_matrix_csr_deviceILj256ELj4EdiiEEvT3_S1_T2_PKT1_PKS2_PKS1_S9_21rocsparse_index_base_22rocsparse_matrix_type_20rocsparse_fill_mode_23rocsparse_storage_mode_P22rocsparse_data_status_.kd
    .uniform_work_group_size: 1
    .uses_dynamic_stack: false
    .vgpr_count:     10
    .vgpr_spill_count: 0
    .wavefront_size: 32
  - .args:
      - .offset:         0
        .size:           4
        .value_kind:     by_value
      - .offset:         4
        .size:           4
        .value_kind:     by_value
      - .offset:         8
        .size:           4
        .value_kind:     by_value
      - .actual_access:  read_only
        .address_space:  global
        .offset:         16
        .size:           8
        .value_kind:     global_buffer
      - .actual_access:  read_only
        .address_space:  global
        .offset:         24
        .size:           8
        .value_kind:     global_buffer
      - .address_space:  global
        .offset:         32
        .size:           8
        .value_kind:     global_buffer
      - .address_space:  global
        .offset:         40
        .size:           8
        .value_kind:     global_buffer
      - .offset:         48
        .size:           4
        .value_kind:     by_value
      - .offset:         52
        .size:           4
        .value_kind:     by_value
      - .offset:         56
        .size:           4
        .value_kind:     by_value
      - .offset:         60
        .size:           4
        .value_kind:     by_value
      - .address_space:  global
        .offset:         64
        .size:           8
        .value_kind:     global_buffer
    .group_segment_fixed_size: 0
    .kernarg_segment_align: 8
    .kernarg_segment_size: 72
    .language:       OpenCL C
    .language_version:
      - 2
      - 0
    .max_flat_workgroup_size: 256
    .name:           _ZN9rocsparseL23check_matrix_csr_deviceILj256ELj8EdiiEEvT3_S1_T2_PKT1_PKS2_PKS1_S9_21rocsparse_index_base_22rocsparse_matrix_type_20rocsparse_fill_mode_23rocsparse_storage_mode_P22rocsparse_data_status_
    .private_segment_fixed_size: 0
    .sgpr_count:     31
    .sgpr_spill_count: 0
    .symbol:         _ZN9rocsparseL23check_matrix_csr_deviceILj256ELj8EdiiEEvT3_S1_T2_PKT1_PKS2_PKS1_S9_21rocsparse_index_base_22rocsparse_matrix_type_20rocsparse_fill_mode_23rocsparse_storage_mode_P22rocsparse_data_status_.kd
    .uniform_work_group_size: 1
    .uses_dynamic_stack: false
    .vgpr_count:     10
    .vgpr_spill_count: 0
    .wavefront_size: 32
  - .args:
      - .offset:         0
        .size:           4
        .value_kind:     by_value
      - .offset:         4
        .size:           4
        .value_kind:     by_value
      - .offset:         8
        .size:           4
        .value_kind:     by_value
      - .actual_access:  read_only
        .address_space:  global
        .offset:         16
        .size:           8
        .value_kind:     global_buffer
      - .actual_access:  read_only
        .address_space:  global
        .offset:         24
        .size:           8
        .value_kind:     global_buffer
      - .address_space:  global
        .offset:         32
        .size:           8
        .value_kind:     global_buffer
      - .address_space:  global
        .offset:         40
        .size:           8
        .value_kind:     global_buffer
      - .offset:         48
        .size:           4
        .value_kind:     by_value
      - .offset:         52
        .size:           4
        .value_kind:     by_value
      - .offset:         56
        .size:           4
        .value_kind:     by_value
      - .offset:         60
        .size:           4
        .value_kind:     by_value
      - .address_space:  global
        .offset:         64
        .size:           8
        .value_kind:     global_buffer
    .group_segment_fixed_size: 0
    .kernarg_segment_align: 8
    .kernarg_segment_size: 72
    .language:       OpenCL C
    .language_version:
      - 2
      - 0
    .max_flat_workgroup_size: 256
    .name:           _ZN9rocsparseL23check_matrix_csr_deviceILj256ELj16EdiiEEvT3_S1_T2_PKT1_PKS2_PKS1_S9_21rocsparse_index_base_22rocsparse_matrix_type_20rocsparse_fill_mode_23rocsparse_storage_mode_P22rocsparse_data_status_
    .private_segment_fixed_size: 0
    .sgpr_count:     31
    .sgpr_spill_count: 0
    .symbol:         _ZN9rocsparseL23check_matrix_csr_deviceILj256ELj16EdiiEEvT3_S1_T2_PKT1_PKS2_PKS1_S9_21rocsparse_index_base_22rocsparse_matrix_type_20rocsparse_fill_mode_23rocsparse_storage_mode_P22rocsparse_data_status_.kd
    .uniform_work_group_size: 1
    .uses_dynamic_stack: false
    .vgpr_count:     10
    .vgpr_spill_count: 0
    .wavefront_size: 32
  - .args:
      - .offset:         0
        .size:           4
        .value_kind:     by_value
      - .offset:         4
        .size:           4
        .value_kind:     by_value
      - .offset:         8
        .size:           4
        .value_kind:     by_value
      - .actual_access:  read_only
        .address_space:  global
        .offset:         16
        .size:           8
        .value_kind:     global_buffer
      - .actual_access:  read_only
        .address_space:  global
        .offset:         24
        .size:           8
        .value_kind:     global_buffer
      - .address_space:  global
        .offset:         32
        .size:           8
        .value_kind:     global_buffer
      - .address_space:  global
        .offset:         40
        .size:           8
        .value_kind:     global_buffer
      - .offset:         48
        .size:           4
        .value_kind:     by_value
      - .offset:         52
        .size:           4
        .value_kind:     by_value
      - .offset:         56
        .size:           4
        .value_kind:     by_value
      - .offset:         60
        .size:           4
        .value_kind:     by_value
      - .address_space:  global
        .offset:         64
        .size:           8
        .value_kind:     global_buffer
    .group_segment_fixed_size: 0
    .kernarg_segment_align: 8
    .kernarg_segment_size: 72
    .language:       OpenCL C
    .language_version:
      - 2
      - 0
    .max_flat_workgroup_size: 256
    .name:           _ZN9rocsparseL23check_matrix_csr_deviceILj256ELj32EdiiEEvT3_S1_T2_PKT1_PKS2_PKS1_S9_21rocsparse_index_base_22rocsparse_matrix_type_20rocsparse_fill_mode_23rocsparse_storage_mode_P22rocsparse_data_status_
    .private_segment_fixed_size: 0
    .sgpr_count:     31
    .sgpr_spill_count: 0
    .symbol:         _ZN9rocsparseL23check_matrix_csr_deviceILj256ELj32EdiiEEvT3_S1_T2_PKT1_PKS2_PKS1_S9_21rocsparse_index_base_22rocsparse_matrix_type_20rocsparse_fill_mode_23rocsparse_storage_mode_P22rocsparse_data_status_.kd
    .uniform_work_group_size: 1
    .uses_dynamic_stack: false
    .vgpr_count:     10
    .vgpr_spill_count: 0
    .wavefront_size: 32
  - .args:
      - .offset:         0
        .size:           4
        .value_kind:     by_value
      - .offset:         4
        .size:           4
        .value_kind:     by_value
      - .offset:         8
        .size:           4
        .value_kind:     by_value
      - .actual_access:  read_only
        .address_space:  global
        .offset:         16
        .size:           8
        .value_kind:     global_buffer
      - .actual_access:  read_only
        .address_space:  global
        .offset:         24
        .size:           8
        .value_kind:     global_buffer
      - .address_space:  global
        .offset:         32
        .size:           8
        .value_kind:     global_buffer
      - .address_space:  global
        .offset:         40
        .size:           8
        .value_kind:     global_buffer
      - .offset:         48
        .size:           4
        .value_kind:     by_value
      - .offset:         52
        .size:           4
        .value_kind:     by_value
      - .offset:         56
        .size:           4
        .value_kind:     by_value
      - .offset:         60
        .size:           4
        .value_kind:     by_value
      - .address_space:  global
        .offset:         64
        .size:           8
        .value_kind:     global_buffer
    .group_segment_fixed_size: 0
    .kernarg_segment_align: 8
    .kernarg_segment_size: 72
    .language:       OpenCL C
    .language_version:
      - 2
      - 0
    .max_flat_workgroup_size: 256
    .name:           _ZN9rocsparseL23check_matrix_csr_deviceILj256ELj64EdiiEEvT3_S1_T2_PKT1_PKS2_PKS1_S9_21rocsparse_index_base_22rocsparse_matrix_type_20rocsparse_fill_mode_23rocsparse_storage_mode_P22rocsparse_data_status_
    .private_segment_fixed_size: 0
    .sgpr_count:     31
    .sgpr_spill_count: 0
    .symbol:         _ZN9rocsparseL23check_matrix_csr_deviceILj256ELj64EdiiEEvT3_S1_T2_PKT1_PKS2_PKS1_S9_21rocsparse_index_base_22rocsparse_matrix_type_20rocsparse_fill_mode_23rocsparse_storage_mode_P22rocsparse_data_status_.kd
    .uniform_work_group_size: 1
    .uses_dynamic_stack: false
    .vgpr_count:     10
    .vgpr_spill_count: 0
    .wavefront_size: 32
  - .args:
      - .offset:         0
        .size:           4
        .value_kind:     by_value
      - .offset:         4
        .size:           4
        .value_kind:     by_value
      - .offset:         8
        .size:           4
        .value_kind:     by_value
      - .actual_access:  read_only
        .address_space:  global
        .offset:         16
        .size:           8
        .value_kind:     global_buffer
      - .actual_access:  read_only
        .address_space:  global
        .offset:         24
        .size:           8
        .value_kind:     global_buffer
      - .address_space:  global
        .offset:         32
        .size:           8
        .value_kind:     global_buffer
      - .address_space:  global
        .offset:         40
        .size:           8
        .value_kind:     global_buffer
      - .offset:         48
        .size:           4
        .value_kind:     by_value
      - .offset:         52
        .size:           4
        .value_kind:     by_value
      - .offset:         56
        .size:           4
        .value_kind:     by_value
      - .offset:         60
        .size:           4
        .value_kind:     by_value
      - .address_space:  global
        .offset:         64
        .size:           8
        .value_kind:     global_buffer
    .group_segment_fixed_size: 0
    .kernarg_segment_align: 8
    .kernarg_segment_size: 72
    .language:       OpenCL C
    .language_version:
      - 2
      - 0
    .max_flat_workgroup_size: 256
    .name:           _ZN9rocsparseL23check_matrix_csr_deviceILj256ELj128EdiiEEvT3_S1_T2_PKT1_PKS2_PKS1_S9_21rocsparse_index_base_22rocsparse_matrix_type_20rocsparse_fill_mode_23rocsparse_storage_mode_P22rocsparse_data_status_
    .private_segment_fixed_size: 0
    .sgpr_count:     31
    .sgpr_spill_count: 0
    .symbol:         _ZN9rocsparseL23check_matrix_csr_deviceILj256ELj128EdiiEEvT3_S1_T2_PKT1_PKS2_PKS1_S9_21rocsparse_index_base_22rocsparse_matrix_type_20rocsparse_fill_mode_23rocsparse_storage_mode_P22rocsparse_data_status_.kd
    .uniform_work_group_size: 1
    .uses_dynamic_stack: false
    .vgpr_count:     10
    .vgpr_spill_count: 0
    .wavefront_size: 32
  - .args:
      - .offset:         0
        .size:           4
        .value_kind:     by_value
      - .offset:         4
        .size:           4
        .value_kind:     by_value
      - .offset:         8
        .size:           4
        .value_kind:     by_value
      - .actual_access:  read_only
        .address_space:  global
        .offset:         16
        .size:           8
        .value_kind:     global_buffer
      - .actual_access:  read_only
        .address_space:  global
        .offset:         24
        .size:           8
        .value_kind:     global_buffer
      - .address_space:  global
        .offset:         32
        .size:           8
        .value_kind:     global_buffer
      - .address_space:  global
        .offset:         40
        .size:           8
        .value_kind:     global_buffer
      - .offset:         48
        .size:           4
        .value_kind:     by_value
      - .offset:         52
        .size:           4
        .value_kind:     by_value
      - .offset:         56
        .size:           4
        .value_kind:     by_value
      - .offset:         60
        .size:           4
        .value_kind:     by_value
      - .address_space:  global
        .offset:         64
        .size:           8
        .value_kind:     global_buffer
    .group_segment_fixed_size: 0
    .kernarg_segment_align: 8
    .kernarg_segment_size: 72
    .language:       OpenCL C
    .language_version:
      - 2
      - 0
    .max_flat_workgroup_size: 256
    .name:           _ZN9rocsparseL23check_matrix_csr_deviceILj256ELj256EdiiEEvT3_S1_T2_PKT1_PKS2_PKS1_S9_21rocsparse_index_base_22rocsparse_matrix_type_20rocsparse_fill_mode_23rocsparse_storage_mode_P22rocsparse_data_status_
    .private_segment_fixed_size: 0
    .sgpr_count:     32
    .sgpr_spill_count: 0
    .symbol:         _ZN9rocsparseL23check_matrix_csr_deviceILj256ELj256EdiiEEvT3_S1_T2_PKT1_PKS2_PKS1_S9_21rocsparse_index_base_22rocsparse_matrix_type_20rocsparse_fill_mode_23rocsparse_storage_mode_P22rocsparse_data_status_.kd
    .uniform_work_group_size: 1
    .uses_dynamic_stack: false
    .vgpr_count:     9
    .vgpr_spill_count: 0
    .wavefront_size: 32
  - .args:
      - .offset:         0
        .size:           4
        .value_kind:     by_value
      - .offset:         4
        .size:           4
        .value_kind:     by_value
      - .offset:         8
        .size:           4
        .value_kind:     by_value
      - .actual_access:  read_only
        .address_space:  global
        .offset:         16
        .size:           8
        .value_kind:     global_buffer
      - .actual_access:  read_only
        .address_space:  global
        .offset:         24
        .size:           8
        .value_kind:     global_buffer
      - .address_space:  global
        .offset:         32
        .size:           8
        .value_kind:     global_buffer
      - .address_space:  global
        .offset:         40
        .size:           8
        .value_kind:     global_buffer
      - .offset:         48
        .size:           4
        .value_kind:     by_value
      - .offset:         52
        .size:           4
        .value_kind:     by_value
      - .offset:         56
        .size:           4
        .value_kind:     by_value
      - .offset:         60
        .size:           4
        .value_kind:     by_value
      - .address_space:  global
        .offset:         64
        .size:           8
        .value_kind:     global_buffer
    .group_segment_fixed_size: 0
    .kernarg_segment_align: 8
    .kernarg_segment_size: 72
    .language:       OpenCL C
    .language_version:
      - 2
      - 0
    .max_flat_workgroup_size: 256
    .name:           _ZN9rocsparseL23check_matrix_csr_deviceILj256ELj4E21rocsparse_complex_numIfEiiEEvT3_S3_T2_PKT1_PKS4_PKS3_SB_21rocsparse_index_base_22rocsparse_matrix_type_20rocsparse_fill_mode_23rocsparse_storage_mode_P22rocsparse_data_status_
    .private_segment_fixed_size: 0
    .sgpr_count:     31
    .sgpr_spill_count: 0
    .symbol:         _ZN9rocsparseL23check_matrix_csr_deviceILj256ELj4E21rocsparse_complex_numIfEiiEEvT3_S3_T2_PKT1_PKS4_PKS3_SB_21rocsparse_index_base_22rocsparse_matrix_type_20rocsparse_fill_mode_23rocsparse_storage_mode_P22rocsparse_data_status_.kd
    .uniform_work_group_size: 1
    .uses_dynamic_stack: false
    .vgpr_count:     10
    .vgpr_spill_count: 0
    .wavefront_size: 32
  - .args:
      - .offset:         0
        .size:           4
        .value_kind:     by_value
      - .offset:         4
        .size:           4
        .value_kind:     by_value
      - .offset:         8
        .size:           4
        .value_kind:     by_value
      - .actual_access:  read_only
        .address_space:  global
        .offset:         16
        .size:           8
        .value_kind:     global_buffer
      - .actual_access:  read_only
        .address_space:  global
        .offset:         24
        .size:           8
        .value_kind:     global_buffer
      - .address_space:  global
        .offset:         32
        .size:           8
        .value_kind:     global_buffer
      - .address_space:  global
        .offset:         40
        .size:           8
        .value_kind:     global_buffer
      - .offset:         48
        .size:           4
        .value_kind:     by_value
      - .offset:         52
        .size:           4
        .value_kind:     by_value
      - .offset:         56
        .size:           4
        .value_kind:     by_value
      - .offset:         60
        .size:           4
        .value_kind:     by_value
      - .address_space:  global
        .offset:         64
        .size:           8
        .value_kind:     global_buffer
    .group_segment_fixed_size: 0
    .kernarg_segment_align: 8
    .kernarg_segment_size: 72
    .language:       OpenCL C
    .language_version:
      - 2
      - 0
    .max_flat_workgroup_size: 256
    .name:           _ZN9rocsparseL23check_matrix_csr_deviceILj256ELj8E21rocsparse_complex_numIfEiiEEvT3_S3_T2_PKT1_PKS4_PKS3_SB_21rocsparse_index_base_22rocsparse_matrix_type_20rocsparse_fill_mode_23rocsparse_storage_mode_P22rocsparse_data_status_
    .private_segment_fixed_size: 0
    .sgpr_count:     31
    .sgpr_spill_count: 0
    .symbol:         _ZN9rocsparseL23check_matrix_csr_deviceILj256ELj8E21rocsparse_complex_numIfEiiEEvT3_S3_T2_PKT1_PKS4_PKS3_SB_21rocsparse_index_base_22rocsparse_matrix_type_20rocsparse_fill_mode_23rocsparse_storage_mode_P22rocsparse_data_status_.kd
    .uniform_work_group_size: 1
    .uses_dynamic_stack: false
    .vgpr_count:     10
    .vgpr_spill_count: 0
    .wavefront_size: 32
  - .args:
      - .offset:         0
        .size:           4
        .value_kind:     by_value
      - .offset:         4
        .size:           4
        .value_kind:     by_value
      - .offset:         8
        .size:           4
        .value_kind:     by_value
      - .actual_access:  read_only
        .address_space:  global
        .offset:         16
        .size:           8
        .value_kind:     global_buffer
      - .actual_access:  read_only
        .address_space:  global
        .offset:         24
        .size:           8
        .value_kind:     global_buffer
      - .address_space:  global
        .offset:         32
        .size:           8
        .value_kind:     global_buffer
      - .address_space:  global
        .offset:         40
        .size:           8
        .value_kind:     global_buffer
      - .offset:         48
        .size:           4
        .value_kind:     by_value
      - .offset:         52
        .size:           4
        .value_kind:     by_value
      - .offset:         56
        .size:           4
        .value_kind:     by_value
      - .offset:         60
        .size:           4
        .value_kind:     by_value
      - .address_space:  global
        .offset:         64
        .size:           8
        .value_kind:     global_buffer
    .group_segment_fixed_size: 0
    .kernarg_segment_align: 8
    .kernarg_segment_size: 72
    .language:       OpenCL C
    .language_version:
      - 2
      - 0
    .max_flat_workgroup_size: 256
    .name:           _ZN9rocsparseL23check_matrix_csr_deviceILj256ELj16E21rocsparse_complex_numIfEiiEEvT3_S3_T2_PKT1_PKS4_PKS3_SB_21rocsparse_index_base_22rocsparse_matrix_type_20rocsparse_fill_mode_23rocsparse_storage_mode_P22rocsparse_data_status_
    .private_segment_fixed_size: 0
    .sgpr_count:     31
    .sgpr_spill_count: 0
    .symbol:         _ZN9rocsparseL23check_matrix_csr_deviceILj256ELj16E21rocsparse_complex_numIfEiiEEvT3_S3_T2_PKT1_PKS4_PKS3_SB_21rocsparse_index_base_22rocsparse_matrix_type_20rocsparse_fill_mode_23rocsparse_storage_mode_P22rocsparse_data_status_.kd
    .uniform_work_group_size: 1
    .uses_dynamic_stack: false
    .vgpr_count:     10
    .vgpr_spill_count: 0
    .wavefront_size: 32
  - .args:
      - .offset:         0
        .size:           4
        .value_kind:     by_value
      - .offset:         4
        .size:           4
        .value_kind:     by_value
      - .offset:         8
        .size:           4
        .value_kind:     by_value
      - .actual_access:  read_only
        .address_space:  global
        .offset:         16
        .size:           8
        .value_kind:     global_buffer
      - .actual_access:  read_only
        .address_space:  global
        .offset:         24
        .size:           8
        .value_kind:     global_buffer
      - .address_space:  global
        .offset:         32
        .size:           8
        .value_kind:     global_buffer
      - .address_space:  global
        .offset:         40
        .size:           8
        .value_kind:     global_buffer
      - .offset:         48
        .size:           4
        .value_kind:     by_value
      - .offset:         52
        .size:           4
        .value_kind:     by_value
      - .offset:         56
        .size:           4
        .value_kind:     by_value
      - .offset:         60
        .size:           4
        .value_kind:     by_value
      - .address_space:  global
        .offset:         64
        .size:           8
        .value_kind:     global_buffer
    .group_segment_fixed_size: 0
    .kernarg_segment_align: 8
    .kernarg_segment_size: 72
    .language:       OpenCL C
    .language_version:
      - 2
      - 0
    .max_flat_workgroup_size: 256
    .name:           _ZN9rocsparseL23check_matrix_csr_deviceILj256ELj32E21rocsparse_complex_numIfEiiEEvT3_S3_T2_PKT1_PKS4_PKS3_SB_21rocsparse_index_base_22rocsparse_matrix_type_20rocsparse_fill_mode_23rocsparse_storage_mode_P22rocsparse_data_status_
    .private_segment_fixed_size: 0
    .sgpr_count:     31
    .sgpr_spill_count: 0
    .symbol:         _ZN9rocsparseL23check_matrix_csr_deviceILj256ELj32E21rocsparse_complex_numIfEiiEEvT3_S3_T2_PKT1_PKS4_PKS3_SB_21rocsparse_index_base_22rocsparse_matrix_type_20rocsparse_fill_mode_23rocsparse_storage_mode_P22rocsparse_data_status_.kd
    .uniform_work_group_size: 1
    .uses_dynamic_stack: false
    .vgpr_count:     10
    .vgpr_spill_count: 0
    .wavefront_size: 32
  - .args:
      - .offset:         0
        .size:           4
        .value_kind:     by_value
      - .offset:         4
        .size:           4
        .value_kind:     by_value
      - .offset:         8
        .size:           4
        .value_kind:     by_value
      - .actual_access:  read_only
        .address_space:  global
        .offset:         16
        .size:           8
        .value_kind:     global_buffer
      - .actual_access:  read_only
        .address_space:  global
        .offset:         24
        .size:           8
        .value_kind:     global_buffer
      - .address_space:  global
        .offset:         32
        .size:           8
        .value_kind:     global_buffer
      - .address_space:  global
        .offset:         40
        .size:           8
        .value_kind:     global_buffer
      - .offset:         48
        .size:           4
        .value_kind:     by_value
      - .offset:         52
        .size:           4
        .value_kind:     by_value
      - .offset:         56
        .size:           4
        .value_kind:     by_value
      - .offset:         60
        .size:           4
        .value_kind:     by_value
      - .address_space:  global
        .offset:         64
        .size:           8
        .value_kind:     global_buffer
    .group_segment_fixed_size: 0
    .kernarg_segment_align: 8
    .kernarg_segment_size: 72
    .language:       OpenCL C
    .language_version:
      - 2
      - 0
    .max_flat_workgroup_size: 256
    .name:           _ZN9rocsparseL23check_matrix_csr_deviceILj256ELj64E21rocsparse_complex_numIfEiiEEvT3_S3_T2_PKT1_PKS4_PKS3_SB_21rocsparse_index_base_22rocsparse_matrix_type_20rocsparse_fill_mode_23rocsparse_storage_mode_P22rocsparse_data_status_
    .private_segment_fixed_size: 0
    .sgpr_count:     31
    .sgpr_spill_count: 0
    .symbol:         _ZN9rocsparseL23check_matrix_csr_deviceILj256ELj64E21rocsparse_complex_numIfEiiEEvT3_S3_T2_PKT1_PKS4_PKS3_SB_21rocsparse_index_base_22rocsparse_matrix_type_20rocsparse_fill_mode_23rocsparse_storage_mode_P22rocsparse_data_status_.kd
    .uniform_work_group_size: 1
    .uses_dynamic_stack: false
    .vgpr_count:     10
    .vgpr_spill_count: 0
    .wavefront_size: 32
  - .args:
      - .offset:         0
        .size:           4
        .value_kind:     by_value
      - .offset:         4
        .size:           4
        .value_kind:     by_value
      - .offset:         8
        .size:           4
        .value_kind:     by_value
      - .actual_access:  read_only
        .address_space:  global
        .offset:         16
        .size:           8
        .value_kind:     global_buffer
      - .actual_access:  read_only
        .address_space:  global
        .offset:         24
        .size:           8
        .value_kind:     global_buffer
      - .address_space:  global
        .offset:         32
        .size:           8
        .value_kind:     global_buffer
      - .address_space:  global
        .offset:         40
        .size:           8
        .value_kind:     global_buffer
      - .offset:         48
        .size:           4
        .value_kind:     by_value
      - .offset:         52
        .size:           4
        .value_kind:     by_value
      - .offset:         56
        .size:           4
        .value_kind:     by_value
      - .offset:         60
        .size:           4
        .value_kind:     by_value
      - .address_space:  global
        .offset:         64
        .size:           8
        .value_kind:     global_buffer
    .group_segment_fixed_size: 0
    .kernarg_segment_align: 8
    .kernarg_segment_size: 72
    .language:       OpenCL C
    .language_version:
      - 2
      - 0
    .max_flat_workgroup_size: 256
    .name:           _ZN9rocsparseL23check_matrix_csr_deviceILj256ELj128E21rocsparse_complex_numIfEiiEEvT3_S3_T2_PKT1_PKS4_PKS3_SB_21rocsparse_index_base_22rocsparse_matrix_type_20rocsparse_fill_mode_23rocsparse_storage_mode_P22rocsparse_data_status_
    .private_segment_fixed_size: 0
    .sgpr_count:     31
    .sgpr_spill_count: 0
    .symbol:         _ZN9rocsparseL23check_matrix_csr_deviceILj256ELj128E21rocsparse_complex_numIfEiiEEvT3_S3_T2_PKT1_PKS4_PKS3_SB_21rocsparse_index_base_22rocsparse_matrix_type_20rocsparse_fill_mode_23rocsparse_storage_mode_P22rocsparse_data_status_.kd
    .uniform_work_group_size: 1
    .uses_dynamic_stack: false
    .vgpr_count:     10
    .vgpr_spill_count: 0
    .wavefront_size: 32
  - .args:
      - .offset:         0
        .size:           4
        .value_kind:     by_value
      - .offset:         4
        .size:           4
        .value_kind:     by_value
      - .offset:         8
        .size:           4
        .value_kind:     by_value
      - .actual_access:  read_only
        .address_space:  global
        .offset:         16
        .size:           8
        .value_kind:     global_buffer
      - .actual_access:  read_only
        .address_space:  global
        .offset:         24
        .size:           8
        .value_kind:     global_buffer
      - .address_space:  global
        .offset:         32
        .size:           8
        .value_kind:     global_buffer
      - .address_space:  global
        .offset:         40
        .size:           8
        .value_kind:     global_buffer
      - .offset:         48
        .size:           4
        .value_kind:     by_value
      - .offset:         52
        .size:           4
        .value_kind:     by_value
      - .offset:         56
        .size:           4
        .value_kind:     by_value
      - .offset:         60
        .size:           4
        .value_kind:     by_value
      - .address_space:  global
        .offset:         64
        .size:           8
        .value_kind:     global_buffer
    .group_segment_fixed_size: 0
    .kernarg_segment_align: 8
    .kernarg_segment_size: 72
    .language:       OpenCL C
    .language_version:
      - 2
      - 0
    .max_flat_workgroup_size: 256
    .name:           _ZN9rocsparseL23check_matrix_csr_deviceILj256ELj256E21rocsparse_complex_numIfEiiEEvT3_S3_T2_PKT1_PKS4_PKS3_SB_21rocsparse_index_base_22rocsparse_matrix_type_20rocsparse_fill_mode_23rocsparse_storage_mode_P22rocsparse_data_status_
    .private_segment_fixed_size: 0
    .sgpr_count:     32
    .sgpr_spill_count: 0
    .symbol:         _ZN9rocsparseL23check_matrix_csr_deviceILj256ELj256E21rocsparse_complex_numIfEiiEEvT3_S3_T2_PKT1_PKS4_PKS3_SB_21rocsparse_index_base_22rocsparse_matrix_type_20rocsparse_fill_mode_23rocsparse_storage_mode_P22rocsparse_data_status_.kd
    .uniform_work_group_size: 1
    .uses_dynamic_stack: false
    .vgpr_count:     9
    .vgpr_spill_count: 0
    .wavefront_size: 32
  - .args:
      - .offset:         0
        .size:           4
        .value_kind:     by_value
      - .offset:         4
        .size:           4
        .value_kind:     by_value
      - .offset:         8
        .size:           4
        .value_kind:     by_value
      - .actual_access:  read_only
        .address_space:  global
        .offset:         16
        .size:           8
        .value_kind:     global_buffer
      - .actual_access:  read_only
        .address_space:  global
        .offset:         24
        .size:           8
        .value_kind:     global_buffer
      - .address_space:  global
        .offset:         32
        .size:           8
        .value_kind:     global_buffer
      - .address_space:  global
        .offset:         40
        .size:           8
        .value_kind:     global_buffer
      - .offset:         48
        .size:           4
        .value_kind:     by_value
      - .offset:         52
        .size:           4
        .value_kind:     by_value
      - .offset:         56
        .size:           4
        .value_kind:     by_value
      - .offset:         60
        .size:           4
        .value_kind:     by_value
      - .address_space:  global
        .offset:         64
        .size:           8
        .value_kind:     global_buffer
    .group_segment_fixed_size: 0
    .kernarg_segment_align: 8
    .kernarg_segment_size: 72
    .language:       OpenCL C
    .language_version:
      - 2
      - 0
    .max_flat_workgroup_size: 256
    .name:           _ZN9rocsparseL23check_matrix_csr_deviceILj256ELj4E21rocsparse_complex_numIdEiiEEvT3_S3_T2_PKT1_PKS4_PKS3_SB_21rocsparse_index_base_22rocsparse_matrix_type_20rocsparse_fill_mode_23rocsparse_storage_mode_P22rocsparse_data_status_
    .private_segment_fixed_size: 0
    .sgpr_count:     31
    .sgpr_spill_count: 0
    .symbol:         _ZN9rocsparseL23check_matrix_csr_deviceILj256ELj4E21rocsparse_complex_numIdEiiEEvT3_S3_T2_PKT1_PKS4_PKS3_SB_21rocsparse_index_base_22rocsparse_matrix_type_20rocsparse_fill_mode_23rocsparse_storage_mode_P22rocsparse_data_status_.kd
    .uniform_work_group_size: 1
    .uses_dynamic_stack: false
    .vgpr_count:     12
    .vgpr_spill_count: 0
    .wavefront_size: 32
  - .args:
      - .offset:         0
        .size:           4
        .value_kind:     by_value
      - .offset:         4
        .size:           4
        .value_kind:     by_value
      - .offset:         8
        .size:           4
        .value_kind:     by_value
      - .actual_access:  read_only
        .address_space:  global
        .offset:         16
        .size:           8
        .value_kind:     global_buffer
      - .actual_access:  read_only
        .address_space:  global
        .offset:         24
        .size:           8
        .value_kind:     global_buffer
      - .address_space:  global
        .offset:         32
        .size:           8
        .value_kind:     global_buffer
      - .address_space:  global
        .offset:         40
        .size:           8
        .value_kind:     global_buffer
      - .offset:         48
        .size:           4
        .value_kind:     by_value
      - .offset:         52
        .size:           4
        .value_kind:     by_value
      - .offset:         56
        .size:           4
        .value_kind:     by_value
      - .offset:         60
        .size:           4
        .value_kind:     by_value
      - .address_space:  global
        .offset:         64
        .size:           8
        .value_kind:     global_buffer
    .group_segment_fixed_size: 0
    .kernarg_segment_align: 8
    .kernarg_segment_size: 72
    .language:       OpenCL C
    .language_version:
      - 2
      - 0
    .max_flat_workgroup_size: 256
    .name:           _ZN9rocsparseL23check_matrix_csr_deviceILj256ELj8E21rocsparse_complex_numIdEiiEEvT3_S3_T2_PKT1_PKS4_PKS3_SB_21rocsparse_index_base_22rocsparse_matrix_type_20rocsparse_fill_mode_23rocsparse_storage_mode_P22rocsparse_data_status_
    .private_segment_fixed_size: 0
    .sgpr_count:     31
    .sgpr_spill_count: 0
    .symbol:         _ZN9rocsparseL23check_matrix_csr_deviceILj256ELj8E21rocsparse_complex_numIdEiiEEvT3_S3_T2_PKT1_PKS4_PKS3_SB_21rocsparse_index_base_22rocsparse_matrix_type_20rocsparse_fill_mode_23rocsparse_storage_mode_P22rocsparse_data_status_.kd
    .uniform_work_group_size: 1
    .uses_dynamic_stack: false
    .vgpr_count:     12
    .vgpr_spill_count: 0
    .wavefront_size: 32
  - .args:
      - .offset:         0
        .size:           4
        .value_kind:     by_value
      - .offset:         4
        .size:           4
        .value_kind:     by_value
      - .offset:         8
        .size:           4
        .value_kind:     by_value
      - .actual_access:  read_only
        .address_space:  global
        .offset:         16
        .size:           8
        .value_kind:     global_buffer
      - .actual_access:  read_only
        .address_space:  global
        .offset:         24
        .size:           8
        .value_kind:     global_buffer
      - .address_space:  global
        .offset:         32
        .size:           8
        .value_kind:     global_buffer
      - .address_space:  global
        .offset:         40
        .size:           8
        .value_kind:     global_buffer
      - .offset:         48
        .size:           4
        .value_kind:     by_value
      - .offset:         52
        .size:           4
        .value_kind:     by_value
      - .offset:         56
        .size:           4
        .value_kind:     by_value
      - .offset:         60
        .size:           4
        .value_kind:     by_value
      - .address_space:  global
        .offset:         64
        .size:           8
        .value_kind:     global_buffer
    .group_segment_fixed_size: 0
    .kernarg_segment_align: 8
    .kernarg_segment_size: 72
    .language:       OpenCL C
    .language_version:
      - 2
      - 0
    .max_flat_workgroup_size: 256
    .name:           _ZN9rocsparseL23check_matrix_csr_deviceILj256ELj16E21rocsparse_complex_numIdEiiEEvT3_S3_T2_PKT1_PKS4_PKS3_SB_21rocsparse_index_base_22rocsparse_matrix_type_20rocsparse_fill_mode_23rocsparse_storage_mode_P22rocsparse_data_status_
    .private_segment_fixed_size: 0
    .sgpr_count:     31
    .sgpr_spill_count: 0
    .symbol:         _ZN9rocsparseL23check_matrix_csr_deviceILj256ELj16E21rocsparse_complex_numIdEiiEEvT3_S3_T2_PKT1_PKS4_PKS3_SB_21rocsparse_index_base_22rocsparse_matrix_type_20rocsparse_fill_mode_23rocsparse_storage_mode_P22rocsparse_data_status_.kd
    .uniform_work_group_size: 1
    .uses_dynamic_stack: false
    .vgpr_count:     12
    .vgpr_spill_count: 0
    .wavefront_size: 32
  - .args:
      - .offset:         0
        .size:           4
        .value_kind:     by_value
      - .offset:         4
        .size:           4
        .value_kind:     by_value
      - .offset:         8
        .size:           4
        .value_kind:     by_value
      - .actual_access:  read_only
        .address_space:  global
        .offset:         16
        .size:           8
        .value_kind:     global_buffer
      - .actual_access:  read_only
        .address_space:  global
        .offset:         24
        .size:           8
        .value_kind:     global_buffer
      - .address_space:  global
        .offset:         32
        .size:           8
        .value_kind:     global_buffer
      - .address_space:  global
        .offset:         40
        .size:           8
        .value_kind:     global_buffer
      - .offset:         48
        .size:           4
        .value_kind:     by_value
      - .offset:         52
        .size:           4
        .value_kind:     by_value
      - .offset:         56
        .size:           4
        .value_kind:     by_value
      - .offset:         60
        .size:           4
        .value_kind:     by_value
      - .address_space:  global
        .offset:         64
        .size:           8
        .value_kind:     global_buffer
    .group_segment_fixed_size: 0
    .kernarg_segment_align: 8
    .kernarg_segment_size: 72
    .language:       OpenCL C
    .language_version:
      - 2
      - 0
    .max_flat_workgroup_size: 256
    .name:           _ZN9rocsparseL23check_matrix_csr_deviceILj256ELj32E21rocsparse_complex_numIdEiiEEvT3_S3_T2_PKT1_PKS4_PKS3_SB_21rocsparse_index_base_22rocsparse_matrix_type_20rocsparse_fill_mode_23rocsparse_storage_mode_P22rocsparse_data_status_
    .private_segment_fixed_size: 0
    .sgpr_count:     31
    .sgpr_spill_count: 0
    .symbol:         _ZN9rocsparseL23check_matrix_csr_deviceILj256ELj32E21rocsparse_complex_numIdEiiEEvT3_S3_T2_PKT1_PKS4_PKS3_SB_21rocsparse_index_base_22rocsparse_matrix_type_20rocsparse_fill_mode_23rocsparse_storage_mode_P22rocsparse_data_status_.kd
    .uniform_work_group_size: 1
    .uses_dynamic_stack: false
    .vgpr_count:     12
    .vgpr_spill_count: 0
    .wavefront_size: 32
  - .args:
      - .offset:         0
        .size:           4
        .value_kind:     by_value
      - .offset:         4
        .size:           4
        .value_kind:     by_value
      - .offset:         8
        .size:           4
        .value_kind:     by_value
      - .actual_access:  read_only
        .address_space:  global
        .offset:         16
        .size:           8
        .value_kind:     global_buffer
      - .actual_access:  read_only
        .address_space:  global
        .offset:         24
        .size:           8
        .value_kind:     global_buffer
      - .address_space:  global
        .offset:         32
        .size:           8
        .value_kind:     global_buffer
      - .address_space:  global
        .offset:         40
        .size:           8
        .value_kind:     global_buffer
      - .offset:         48
        .size:           4
        .value_kind:     by_value
      - .offset:         52
        .size:           4
        .value_kind:     by_value
      - .offset:         56
        .size:           4
        .value_kind:     by_value
      - .offset:         60
        .size:           4
        .value_kind:     by_value
      - .address_space:  global
        .offset:         64
        .size:           8
        .value_kind:     global_buffer
    .group_segment_fixed_size: 0
    .kernarg_segment_align: 8
    .kernarg_segment_size: 72
    .language:       OpenCL C
    .language_version:
      - 2
      - 0
    .max_flat_workgroup_size: 256
    .name:           _ZN9rocsparseL23check_matrix_csr_deviceILj256ELj64E21rocsparse_complex_numIdEiiEEvT3_S3_T2_PKT1_PKS4_PKS3_SB_21rocsparse_index_base_22rocsparse_matrix_type_20rocsparse_fill_mode_23rocsparse_storage_mode_P22rocsparse_data_status_
    .private_segment_fixed_size: 0
    .sgpr_count:     31
    .sgpr_spill_count: 0
    .symbol:         _ZN9rocsparseL23check_matrix_csr_deviceILj256ELj64E21rocsparse_complex_numIdEiiEEvT3_S3_T2_PKT1_PKS4_PKS3_SB_21rocsparse_index_base_22rocsparse_matrix_type_20rocsparse_fill_mode_23rocsparse_storage_mode_P22rocsparse_data_status_.kd
    .uniform_work_group_size: 1
    .uses_dynamic_stack: false
    .vgpr_count:     12
    .vgpr_spill_count: 0
    .wavefront_size: 32
  - .args:
      - .offset:         0
        .size:           4
        .value_kind:     by_value
      - .offset:         4
        .size:           4
        .value_kind:     by_value
      - .offset:         8
        .size:           4
        .value_kind:     by_value
      - .actual_access:  read_only
        .address_space:  global
        .offset:         16
        .size:           8
        .value_kind:     global_buffer
      - .actual_access:  read_only
        .address_space:  global
        .offset:         24
        .size:           8
        .value_kind:     global_buffer
      - .address_space:  global
        .offset:         32
        .size:           8
        .value_kind:     global_buffer
      - .address_space:  global
        .offset:         40
        .size:           8
        .value_kind:     global_buffer
      - .offset:         48
        .size:           4
        .value_kind:     by_value
      - .offset:         52
        .size:           4
        .value_kind:     by_value
      - .offset:         56
        .size:           4
        .value_kind:     by_value
      - .offset:         60
        .size:           4
        .value_kind:     by_value
      - .address_space:  global
        .offset:         64
        .size:           8
        .value_kind:     global_buffer
    .group_segment_fixed_size: 0
    .kernarg_segment_align: 8
    .kernarg_segment_size: 72
    .language:       OpenCL C
    .language_version:
      - 2
      - 0
    .max_flat_workgroup_size: 256
    .name:           _ZN9rocsparseL23check_matrix_csr_deviceILj256ELj128E21rocsparse_complex_numIdEiiEEvT3_S3_T2_PKT1_PKS4_PKS3_SB_21rocsparse_index_base_22rocsparse_matrix_type_20rocsparse_fill_mode_23rocsparse_storage_mode_P22rocsparse_data_status_
    .private_segment_fixed_size: 0
    .sgpr_count:     31
    .sgpr_spill_count: 0
    .symbol:         _ZN9rocsparseL23check_matrix_csr_deviceILj256ELj128E21rocsparse_complex_numIdEiiEEvT3_S3_T2_PKT1_PKS4_PKS3_SB_21rocsparse_index_base_22rocsparse_matrix_type_20rocsparse_fill_mode_23rocsparse_storage_mode_P22rocsparse_data_status_.kd
    .uniform_work_group_size: 1
    .uses_dynamic_stack: false
    .vgpr_count:     12
    .vgpr_spill_count: 0
    .wavefront_size: 32
  - .args:
      - .offset:         0
        .size:           4
        .value_kind:     by_value
      - .offset:         4
        .size:           4
        .value_kind:     by_value
      - .offset:         8
        .size:           4
        .value_kind:     by_value
      - .actual_access:  read_only
        .address_space:  global
        .offset:         16
        .size:           8
        .value_kind:     global_buffer
      - .actual_access:  read_only
        .address_space:  global
        .offset:         24
        .size:           8
        .value_kind:     global_buffer
      - .address_space:  global
        .offset:         32
        .size:           8
        .value_kind:     global_buffer
      - .address_space:  global
        .offset:         40
        .size:           8
        .value_kind:     global_buffer
      - .offset:         48
        .size:           4
        .value_kind:     by_value
      - .offset:         52
        .size:           4
        .value_kind:     by_value
      - .offset:         56
        .size:           4
        .value_kind:     by_value
      - .offset:         60
        .size:           4
        .value_kind:     by_value
      - .address_space:  global
        .offset:         64
        .size:           8
        .value_kind:     global_buffer
    .group_segment_fixed_size: 0
    .kernarg_segment_align: 8
    .kernarg_segment_size: 72
    .language:       OpenCL C
    .language_version:
      - 2
      - 0
    .max_flat_workgroup_size: 256
    .name:           _ZN9rocsparseL23check_matrix_csr_deviceILj256ELj256E21rocsparse_complex_numIdEiiEEvT3_S3_T2_PKT1_PKS4_PKS3_SB_21rocsparse_index_base_22rocsparse_matrix_type_20rocsparse_fill_mode_23rocsparse_storage_mode_P22rocsparse_data_status_
    .private_segment_fixed_size: 0
    .sgpr_count:     32
    .sgpr_spill_count: 0
    .symbol:         _ZN9rocsparseL23check_matrix_csr_deviceILj256ELj256E21rocsparse_complex_numIdEiiEEvT3_S3_T2_PKT1_PKS4_PKS3_SB_21rocsparse_index_base_22rocsparse_matrix_type_20rocsparse_fill_mode_23rocsparse_storage_mode_P22rocsparse_data_status_.kd
    .uniform_work_group_size: 1
    .uses_dynamic_stack: false
    .vgpr_count:     11
    .vgpr_spill_count: 0
    .wavefront_size: 32
  - .args:
      - .offset:         0
        .size:           4
        .value_kind:     by_value
      - .actual_access:  read_only
        .address_space:  global
        .offset:         8
        .size:           8
        .value_kind:     global_buffer
      - .address_space:  global
        .offset:         16
        .size:           8
        .value_kind:     global_buffer
    .group_segment_fixed_size: 0
    .kernarg_segment_align: 8
    .kernarg_segment_size: 24
    .language:       OpenCL C
    .language_version:
      - 2
      - 0
    .max_flat_workgroup_size: 256
    .name:           _ZN9rocsparseL19check_row_ptr_arrayILj256EliEEvT1_PKT0_P22rocsparse_data_status_
    .private_segment_fixed_size: 0
    .sgpr_count:     8
    .sgpr_spill_count: 0
    .symbol:         _ZN9rocsparseL19check_row_ptr_arrayILj256EliEEvT1_PKT0_P22rocsparse_data_status_.kd
    .uniform_work_group_size: 1
    .uses_dynamic_stack: false
    .vgpr_count:     6
    .vgpr_spill_count: 0
    .wavefront_size: 32
  - .args:
      - .offset:         0
        .size:           4
        .value_kind:     by_value
      - .actual_access:  read_only
        .address_space:  global
        .offset:         8
        .size:           8
        .value_kind:     global_buffer
      - .actual_access:  write_only
        .address_space:  global
        .offset:         16
        .size:           8
        .value_kind:     global_buffer
    .group_segment_fixed_size: 0
    .kernarg_segment_align: 8
    .kernarg_segment_size: 24
    .language:       OpenCL C
    .language_version:
      - 2
      - 0
    .max_flat_workgroup_size: 512
    .name:           _ZN9rocsparseL20shift_offsets_kernelILj512EliEEvT1_PKT0_PS2_
    .private_segment_fixed_size: 0
    .sgpr_count:     10
    .sgpr_spill_count: 0
    .symbol:         _ZN9rocsparseL20shift_offsets_kernelILj512EliEEvT1_PKT0_PS2_.kd
    .uniform_work_group_size: 1
    .uses_dynamic_stack: false
    .vgpr_count:     4
    .vgpr_spill_count: 0
    .wavefront_size: 32
  - .args:
      - .offset:         0
        .size:           4
        .value_kind:     by_value
      - .offset:         4
        .size:           4
        .value_kind:     by_value
      - .offset:         8
        .size:           8
        .value_kind:     by_value
      - .actual_access:  read_only
        .address_space:  global
        .offset:         16
        .size:           8
        .value_kind:     global_buffer
      - .actual_access:  read_only
        .address_space:  global
        .offset:         24
        .size:           8
        .value_kind:     global_buffer
      - .address_space:  global
        .offset:         32
        .size:           8
        .value_kind:     global_buffer
      - .address_space:  global
        .offset:         40
        .size:           8
        .value_kind:     global_buffer
      - .offset:         48
        .size:           4
        .value_kind:     by_value
      - .offset:         52
        .size:           4
        .value_kind:     by_value
      - .offset:         56
        .size:           4
        .value_kind:     by_value
      - .offset:         60
        .size:           4
        .value_kind:     by_value
      - .address_space:  global
        .offset:         64
        .size:           8
        .value_kind:     global_buffer
    .group_segment_fixed_size: 0
    .kernarg_segment_align: 8
    .kernarg_segment_size: 72
    .language:       OpenCL C
    .language_version:
      - 2
      - 0
    .max_flat_workgroup_size: 256
    .name:           _ZN9rocsparseL23check_matrix_csr_deviceILj256ELj4EfliEEvT3_S1_T2_PKT1_PKS2_PKS1_S9_21rocsparse_index_base_22rocsparse_matrix_type_20rocsparse_fill_mode_23rocsparse_storage_mode_P22rocsparse_data_status_
    .private_segment_fixed_size: 0
    .sgpr_count:     25
    .sgpr_spill_count: 0
    .symbol:         _ZN9rocsparseL23check_matrix_csr_deviceILj256ELj4EfliEEvT3_S1_T2_PKT1_PKS2_PKS1_S9_21rocsparse_index_base_22rocsparse_matrix_type_20rocsparse_fill_mode_23rocsparse_storage_mode_P22rocsparse_data_status_.kd
    .uniform_work_group_size: 1
    .uses_dynamic_stack: false
    .vgpr_count:     18
    .vgpr_spill_count: 0
    .wavefront_size: 32
  - .args:
      - .offset:         0
        .size:           4
        .value_kind:     by_value
      - .offset:         4
        .size:           4
        .value_kind:     by_value
      - .offset:         8
        .size:           8
        .value_kind:     by_value
      - .actual_access:  read_only
        .address_space:  global
        .offset:         16
        .size:           8
        .value_kind:     global_buffer
      - .actual_access:  read_only
        .address_space:  global
        .offset:         24
        .size:           8
        .value_kind:     global_buffer
      - .address_space:  global
        .offset:         32
        .size:           8
        .value_kind:     global_buffer
      - .address_space:  global
        .offset:         40
        .size:           8
        .value_kind:     global_buffer
      - .offset:         48
        .size:           4
        .value_kind:     by_value
      - .offset:         52
        .size:           4
        .value_kind:     by_value
      - .offset:         56
        .size:           4
        .value_kind:     by_value
      - .offset:         60
        .size:           4
        .value_kind:     by_value
      - .address_space:  global
        .offset:         64
        .size:           8
        .value_kind:     global_buffer
    .group_segment_fixed_size: 0
    .kernarg_segment_align: 8
    .kernarg_segment_size: 72
    .language:       OpenCL C
    .language_version:
      - 2
      - 0
    .max_flat_workgroup_size: 256
    .name:           _ZN9rocsparseL23check_matrix_csr_deviceILj256ELj8EfliEEvT3_S1_T2_PKT1_PKS2_PKS1_S9_21rocsparse_index_base_22rocsparse_matrix_type_20rocsparse_fill_mode_23rocsparse_storage_mode_P22rocsparse_data_status_
    .private_segment_fixed_size: 0
    .sgpr_count:     25
    .sgpr_spill_count: 0
    .symbol:         _ZN9rocsparseL23check_matrix_csr_deviceILj256ELj8EfliEEvT3_S1_T2_PKT1_PKS2_PKS1_S9_21rocsparse_index_base_22rocsparse_matrix_type_20rocsparse_fill_mode_23rocsparse_storage_mode_P22rocsparse_data_status_.kd
    .uniform_work_group_size: 1
    .uses_dynamic_stack: false
    .vgpr_count:     18
    .vgpr_spill_count: 0
    .wavefront_size: 32
  - .args:
      - .offset:         0
        .size:           4
        .value_kind:     by_value
      - .offset:         4
        .size:           4
        .value_kind:     by_value
      - .offset:         8
        .size:           8
        .value_kind:     by_value
      - .actual_access:  read_only
        .address_space:  global
        .offset:         16
        .size:           8
        .value_kind:     global_buffer
      - .actual_access:  read_only
        .address_space:  global
        .offset:         24
        .size:           8
        .value_kind:     global_buffer
      - .address_space:  global
        .offset:         32
        .size:           8
        .value_kind:     global_buffer
      - .address_space:  global
        .offset:         40
        .size:           8
        .value_kind:     global_buffer
      - .offset:         48
        .size:           4
        .value_kind:     by_value
      - .offset:         52
        .size:           4
        .value_kind:     by_value
      - .offset:         56
        .size:           4
        .value_kind:     by_value
      - .offset:         60
        .size:           4
        .value_kind:     by_value
      - .address_space:  global
        .offset:         64
        .size:           8
        .value_kind:     global_buffer
    .group_segment_fixed_size: 0
    .kernarg_segment_align: 8
    .kernarg_segment_size: 72
    .language:       OpenCL C
    .language_version:
      - 2
      - 0
    .max_flat_workgroup_size: 256
    .name:           _ZN9rocsparseL23check_matrix_csr_deviceILj256ELj16EfliEEvT3_S1_T2_PKT1_PKS2_PKS1_S9_21rocsparse_index_base_22rocsparse_matrix_type_20rocsparse_fill_mode_23rocsparse_storage_mode_P22rocsparse_data_status_
    .private_segment_fixed_size: 0
    .sgpr_count:     25
    .sgpr_spill_count: 0
    .symbol:         _ZN9rocsparseL23check_matrix_csr_deviceILj256ELj16EfliEEvT3_S1_T2_PKT1_PKS2_PKS1_S9_21rocsparse_index_base_22rocsparse_matrix_type_20rocsparse_fill_mode_23rocsparse_storage_mode_P22rocsparse_data_status_.kd
    .uniform_work_group_size: 1
    .uses_dynamic_stack: false
    .vgpr_count:     18
    .vgpr_spill_count: 0
    .wavefront_size: 32
  - .args:
      - .offset:         0
        .size:           4
        .value_kind:     by_value
      - .offset:         4
        .size:           4
        .value_kind:     by_value
      - .offset:         8
        .size:           8
        .value_kind:     by_value
      - .actual_access:  read_only
        .address_space:  global
        .offset:         16
        .size:           8
        .value_kind:     global_buffer
      - .actual_access:  read_only
        .address_space:  global
        .offset:         24
        .size:           8
        .value_kind:     global_buffer
      - .address_space:  global
        .offset:         32
        .size:           8
        .value_kind:     global_buffer
      - .address_space:  global
        .offset:         40
        .size:           8
        .value_kind:     global_buffer
      - .offset:         48
        .size:           4
        .value_kind:     by_value
      - .offset:         52
        .size:           4
        .value_kind:     by_value
      - .offset:         56
        .size:           4
        .value_kind:     by_value
      - .offset:         60
        .size:           4
        .value_kind:     by_value
      - .address_space:  global
        .offset:         64
        .size:           8
        .value_kind:     global_buffer
    .group_segment_fixed_size: 0
    .kernarg_segment_align: 8
    .kernarg_segment_size: 72
    .language:       OpenCL C
    .language_version:
      - 2
      - 0
    .max_flat_workgroup_size: 256
    .name:           _ZN9rocsparseL23check_matrix_csr_deviceILj256ELj32EfliEEvT3_S1_T2_PKT1_PKS2_PKS1_S9_21rocsparse_index_base_22rocsparse_matrix_type_20rocsparse_fill_mode_23rocsparse_storage_mode_P22rocsparse_data_status_
    .private_segment_fixed_size: 0
    .sgpr_count:     25
    .sgpr_spill_count: 0
    .symbol:         _ZN9rocsparseL23check_matrix_csr_deviceILj256ELj32EfliEEvT3_S1_T2_PKT1_PKS2_PKS1_S9_21rocsparse_index_base_22rocsparse_matrix_type_20rocsparse_fill_mode_23rocsparse_storage_mode_P22rocsparse_data_status_.kd
    .uniform_work_group_size: 1
    .uses_dynamic_stack: false
    .vgpr_count:     18
    .vgpr_spill_count: 0
    .wavefront_size: 32
  - .args:
      - .offset:         0
        .size:           4
        .value_kind:     by_value
      - .offset:         4
        .size:           4
        .value_kind:     by_value
      - .offset:         8
        .size:           8
        .value_kind:     by_value
      - .actual_access:  read_only
        .address_space:  global
        .offset:         16
        .size:           8
        .value_kind:     global_buffer
      - .actual_access:  read_only
        .address_space:  global
        .offset:         24
        .size:           8
        .value_kind:     global_buffer
      - .address_space:  global
        .offset:         32
        .size:           8
        .value_kind:     global_buffer
      - .address_space:  global
        .offset:         40
        .size:           8
        .value_kind:     global_buffer
      - .offset:         48
        .size:           4
        .value_kind:     by_value
      - .offset:         52
        .size:           4
        .value_kind:     by_value
      - .offset:         56
        .size:           4
        .value_kind:     by_value
      - .offset:         60
        .size:           4
        .value_kind:     by_value
      - .address_space:  global
        .offset:         64
        .size:           8
        .value_kind:     global_buffer
    .group_segment_fixed_size: 0
    .kernarg_segment_align: 8
    .kernarg_segment_size: 72
    .language:       OpenCL C
    .language_version:
      - 2
      - 0
    .max_flat_workgroup_size: 256
    .name:           _ZN9rocsparseL23check_matrix_csr_deviceILj256ELj64EfliEEvT3_S1_T2_PKT1_PKS2_PKS1_S9_21rocsparse_index_base_22rocsparse_matrix_type_20rocsparse_fill_mode_23rocsparse_storage_mode_P22rocsparse_data_status_
    .private_segment_fixed_size: 0
    .sgpr_count:     25
    .sgpr_spill_count: 0
    .symbol:         _ZN9rocsparseL23check_matrix_csr_deviceILj256ELj64EfliEEvT3_S1_T2_PKT1_PKS2_PKS1_S9_21rocsparse_index_base_22rocsparse_matrix_type_20rocsparse_fill_mode_23rocsparse_storage_mode_P22rocsparse_data_status_.kd
    .uniform_work_group_size: 1
    .uses_dynamic_stack: false
    .vgpr_count:     18
    .vgpr_spill_count: 0
    .wavefront_size: 32
  - .args:
      - .offset:         0
        .size:           4
        .value_kind:     by_value
      - .offset:         4
        .size:           4
        .value_kind:     by_value
      - .offset:         8
        .size:           8
        .value_kind:     by_value
      - .actual_access:  read_only
        .address_space:  global
        .offset:         16
        .size:           8
        .value_kind:     global_buffer
      - .actual_access:  read_only
        .address_space:  global
        .offset:         24
        .size:           8
        .value_kind:     global_buffer
      - .address_space:  global
        .offset:         32
        .size:           8
        .value_kind:     global_buffer
      - .address_space:  global
        .offset:         40
        .size:           8
        .value_kind:     global_buffer
      - .offset:         48
        .size:           4
        .value_kind:     by_value
      - .offset:         52
        .size:           4
        .value_kind:     by_value
      - .offset:         56
        .size:           4
        .value_kind:     by_value
      - .offset:         60
        .size:           4
        .value_kind:     by_value
      - .address_space:  global
        .offset:         64
        .size:           8
        .value_kind:     global_buffer
    .group_segment_fixed_size: 0
    .kernarg_segment_align: 8
    .kernarg_segment_size: 72
    .language:       OpenCL C
    .language_version:
      - 2
      - 0
    .max_flat_workgroup_size: 256
    .name:           _ZN9rocsparseL23check_matrix_csr_deviceILj256ELj128EfliEEvT3_S1_T2_PKT1_PKS2_PKS1_S9_21rocsparse_index_base_22rocsparse_matrix_type_20rocsparse_fill_mode_23rocsparse_storage_mode_P22rocsparse_data_status_
    .private_segment_fixed_size: 0
    .sgpr_count:     25
    .sgpr_spill_count: 0
    .symbol:         _ZN9rocsparseL23check_matrix_csr_deviceILj256ELj128EfliEEvT3_S1_T2_PKT1_PKS2_PKS1_S9_21rocsparse_index_base_22rocsparse_matrix_type_20rocsparse_fill_mode_23rocsparse_storage_mode_P22rocsparse_data_status_.kd
    .uniform_work_group_size: 1
    .uses_dynamic_stack: false
    .vgpr_count:     18
    .vgpr_spill_count: 0
    .wavefront_size: 32
  - .args:
      - .offset:         0
        .size:           4
        .value_kind:     by_value
      - .offset:         4
        .size:           4
        .value_kind:     by_value
      - .offset:         8
        .size:           8
        .value_kind:     by_value
      - .actual_access:  read_only
        .address_space:  global
        .offset:         16
        .size:           8
        .value_kind:     global_buffer
      - .actual_access:  read_only
        .address_space:  global
        .offset:         24
        .size:           8
        .value_kind:     global_buffer
      - .address_space:  global
        .offset:         32
        .size:           8
        .value_kind:     global_buffer
      - .address_space:  global
        .offset:         40
        .size:           8
        .value_kind:     global_buffer
      - .offset:         48
        .size:           4
        .value_kind:     by_value
      - .offset:         52
        .size:           4
        .value_kind:     by_value
      - .offset:         56
        .size:           4
        .value_kind:     by_value
      - .offset:         60
        .size:           4
        .value_kind:     by_value
      - .address_space:  global
        .offset:         64
        .size:           8
        .value_kind:     global_buffer
    .group_segment_fixed_size: 0
    .kernarg_segment_align: 8
    .kernarg_segment_size: 72
    .language:       OpenCL C
    .language_version:
      - 2
      - 0
    .max_flat_workgroup_size: 256
    .name:           _ZN9rocsparseL23check_matrix_csr_deviceILj256ELj256EfliEEvT3_S1_T2_PKT1_PKS2_PKS1_S9_21rocsparse_index_base_22rocsparse_matrix_type_20rocsparse_fill_mode_23rocsparse_storage_mode_P22rocsparse_data_status_
    .private_segment_fixed_size: 0
    .sgpr_count:     26
    .sgpr_spill_count: 0
    .symbol:         _ZN9rocsparseL23check_matrix_csr_deviceILj256ELj256EfliEEvT3_S1_T2_PKT1_PKS2_PKS1_S9_21rocsparse_index_base_22rocsparse_matrix_type_20rocsparse_fill_mode_23rocsparse_storage_mode_P22rocsparse_data_status_.kd
    .uniform_work_group_size: 1
    .uses_dynamic_stack: false
    .vgpr_count:     18
    .vgpr_spill_count: 0
    .wavefront_size: 32
  - .args:
      - .offset:         0
        .size:           4
        .value_kind:     by_value
      - .offset:         4
        .size:           4
        .value_kind:     by_value
      - .offset:         8
        .size:           8
        .value_kind:     by_value
      - .actual_access:  read_only
        .address_space:  global
        .offset:         16
        .size:           8
        .value_kind:     global_buffer
      - .actual_access:  read_only
        .address_space:  global
        .offset:         24
        .size:           8
        .value_kind:     global_buffer
      - .address_space:  global
        .offset:         32
        .size:           8
        .value_kind:     global_buffer
      - .address_space:  global
        .offset:         40
        .size:           8
        .value_kind:     global_buffer
      - .offset:         48
        .size:           4
        .value_kind:     by_value
      - .offset:         52
        .size:           4
        .value_kind:     by_value
      - .offset:         56
        .size:           4
        .value_kind:     by_value
      - .offset:         60
        .size:           4
        .value_kind:     by_value
      - .address_space:  global
        .offset:         64
        .size:           8
        .value_kind:     global_buffer
    .group_segment_fixed_size: 0
    .kernarg_segment_align: 8
    .kernarg_segment_size: 72
    .language:       OpenCL C
    .language_version:
      - 2
      - 0
    .max_flat_workgroup_size: 256
    .name:           _ZN9rocsparseL23check_matrix_csr_deviceILj256ELj4EdliEEvT3_S1_T2_PKT1_PKS2_PKS1_S9_21rocsparse_index_base_22rocsparse_matrix_type_20rocsparse_fill_mode_23rocsparse_storage_mode_P22rocsparse_data_status_
    .private_segment_fixed_size: 0
    .sgpr_count:     25
    .sgpr_spill_count: 0
    .symbol:         _ZN9rocsparseL23check_matrix_csr_deviceILj256ELj4EdliEEvT3_S1_T2_PKT1_PKS2_PKS1_S9_21rocsparse_index_base_22rocsparse_matrix_type_20rocsparse_fill_mode_23rocsparse_storage_mode_P22rocsparse_data_status_.kd
    .uniform_work_group_size: 1
    .uses_dynamic_stack: false
    .vgpr_count:     18
    .vgpr_spill_count: 0
    .wavefront_size: 32
  - .args:
      - .offset:         0
        .size:           4
        .value_kind:     by_value
      - .offset:         4
        .size:           4
        .value_kind:     by_value
      - .offset:         8
        .size:           8
        .value_kind:     by_value
      - .actual_access:  read_only
        .address_space:  global
        .offset:         16
        .size:           8
        .value_kind:     global_buffer
      - .actual_access:  read_only
        .address_space:  global
        .offset:         24
        .size:           8
        .value_kind:     global_buffer
      - .address_space:  global
        .offset:         32
        .size:           8
        .value_kind:     global_buffer
      - .address_space:  global
        .offset:         40
        .size:           8
        .value_kind:     global_buffer
      - .offset:         48
        .size:           4
        .value_kind:     by_value
      - .offset:         52
        .size:           4
        .value_kind:     by_value
      - .offset:         56
        .size:           4
        .value_kind:     by_value
      - .offset:         60
        .size:           4
        .value_kind:     by_value
      - .address_space:  global
        .offset:         64
        .size:           8
        .value_kind:     global_buffer
    .group_segment_fixed_size: 0
    .kernarg_segment_align: 8
    .kernarg_segment_size: 72
    .language:       OpenCL C
    .language_version:
      - 2
      - 0
    .max_flat_workgroup_size: 256
    .name:           _ZN9rocsparseL23check_matrix_csr_deviceILj256ELj8EdliEEvT3_S1_T2_PKT1_PKS2_PKS1_S9_21rocsparse_index_base_22rocsparse_matrix_type_20rocsparse_fill_mode_23rocsparse_storage_mode_P22rocsparse_data_status_
    .private_segment_fixed_size: 0
    .sgpr_count:     25
    .sgpr_spill_count: 0
    .symbol:         _ZN9rocsparseL23check_matrix_csr_deviceILj256ELj8EdliEEvT3_S1_T2_PKT1_PKS2_PKS1_S9_21rocsparse_index_base_22rocsparse_matrix_type_20rocsparse_fill_mode_23rocsparse_storage_mode_P22rocsparse_data_status_.kd
    .uniform_work_group_size: 1
    .uses_dynamic_stack: false
    .vgpr_count:     18
    .vgpr_spill_count: 0
    .wavefront_size: 32
  - .args:
      - .offset:         0
        .size:           4
        .value_kind:     by_value
      - .offset:         4
        .size:           4
        .value_kind:     by_value
      - .offset:         8
        .size:           8
        .value_kind:     by_value
      - .actual_access:  read_only
        .address_space:  global
        .offset:         16
        .size:           8
        .value_kind:     global_buffer
      - .actual_access:  read_only
        .address_space:  global
        .offset:         24
        .size:           8
        .value_kind:     global_buffer
      - .address_space:  global
        .offset:         32
        .size:           8
        .value_kind:     global_buffer
      - .address_space:  global
        .offset:         40
        .size:           8
        .value_kind:     global_buffer
      - .offset:         48
        .size:           4
        .value_kind:     by_value
      - .offset:         52
        .size:           4
        .value_kind:     by_value
      - .offset:         56
        .size:           4
        .value_kind:     by_value
      - .offset:         60
        .size:           4
        .value_kind:     by_value
      - .address_space:  global
        .offset:         64
        .size:           8
        .value_kind:     global_buffer
    .group_segment_fixed_size: 0
    .kernarg_segment_align: 8
    .kernarg_segment_size: 72
    .language:       OpenCL C
    .language_version:
      - 2
      - 0
    .max_flat_workgroup_size: 256
    .name:           _ZN9rocsparseL23check_matrix_csr_deviceILj256ELj16EdliEEvT3_S1_T2_PKT1_PKS2_PKS1_S9_21rocsparse_index_base_22rocsparse_matrix_type_20rocsparse_fill_mode_23rocsparse_storage_mode_P22rocsparse_data_status_
    .private_segment_fixed_size: 0
    .sgpr_count:     25
    .sgpr_spill_count: 0
    .symbol:         _ZN9rocsparseL23check_matrix_csr_deviceILj256ELj16EdliEEvT3_S1_T2_PKT1_PKS2_PKS1_S9_21rocsparse_index_base_22rocsparse_matrix_type_20rocsparse_fill_mode_23rocsparse_storage_mode_P22rocsparse_data_status_.kd
    .uniform_work_group_size: 1
    .uses_dynamic_stack: false
    .vgpr_count:     18
    .vgpr_spill_count: 0
    .wavefront_size: 32
  - .args:
      - .offset:         0
        .size:           4
        .value_kind:     by_value
      - .offset:         4
        .size:           4
        .value_kind:     by_value
      - .offset:         8
        .size:           8
        .value_kind:     by_value
      - .actual_access:  read_only
        .address_space:  global
        .offset:         16
        .size:           8
        .value_kind:     global_buffer
      - .actual_access:  read_only
        .address_space:  global
        .offset:         24
        .size:           8
        .value_kind:     global_buffer
      - .address_space:  global
        .offset:         32
        .size:           8
        .value_kind:     global_buffer
      - .address_space:  global
        .offset:         40
        .size:           8
        .value_kind:     global_buffer
      - .offset:         48
        .size:           4
        .value_kind:     by_value
      - .offset:         52
        .size:           4
        .value_kind:     by_value
      - .offset:         56
        .size:           4
        .value_kind:     by_value
      - .offset:         60
        .size:           4
        .value_kind:     by_value
      - .address_space:  global
        .offset:         64
        .size:           8
        .value_kind:     global_buffer
    .group_segment_fixed_size: 0
    .kernarg_segment_align: 8
    .kernarg_segment_size: 72
    .language:       OpenCL C
    .language_version:
      - 2
      - 0
    .max_flat_workgroup_size: 256
    .name:           _ZN9rocsparseL23check_matrix_csr_deviceILj256ELj32EdliEEvT3_S1_T2_PKT1_PKS2_PKS1_S9_21rocsparse_index_base_22rocsparse_matrix_type_20rocsparse_fill_mode_23rocsparse_storage_mode_P22rocsparse_data_status_
    .private_segment_fixed_size: 0
    .sgpr_count:     25
    .sgpr_spill_count: 0
    .symbol:         _ZN9rocsparseL23check_matrix_csr_deviceILj256ELj32EdliEEvT3_S1_T2_PKT1_PKS2_PKS1_S9_21rocsparse_index_base_22rocsparse_matrix_type_20rocsparse_fill_mode_23rocsparse_storage_mode_P22rocsparse_data_status_.kd
    .uniform_work_group_size: 1
    .uses_dynamic_stack: false
    .vgpr_count:     18
    .vgpr_spill_count: 0
    .wavefront_size: 32
  - .args:
      - .offset:         0
        .size:           4
        .value_kind:     by_value
      - .offset:         4
        .size:           4
        .value_kind:     by_value
      - .offset:         8
        .size:           8
        .value_kind:     by_value
      - .actual_access:  read_only
        .address_space:  global
        .offset:         16
        .size:           8
        .value_kind:     global_buffer
      - .actual_access:  read_only
        .address_space:  global
        .offset:         24
        .size:           8
        .value_kind:     global_buffer
      - .address_space:  global
        .offset:         32
        .size:           8
        .value_kind:     global_buffer
      - .address_space:  global
        .offset:         40
        .size:           8
        .value_kind:     global_buffer
      - .offset:         48
        .size:           4
        .value_kind:     by_value
      - .offset:         52
        .size:           4
        .value_kind:     by_value
      - .offset:         56
        .size:           4
        .value_kind:     by_value
      - .offset:         60
        .size:           4
        .value_kind:     by_value
      - .address_space:  global
        .offset:         64
        .size:           8
        .value_kind:     global_buffer
    .group_segment_fixed_size: 0
    .kernarg_segment_align: 8
    .kernarg_segment_size: 72
    .language:       OpenCL C
    .language_version:
      - 2
      - 0
    .max_flat_workgroup_size: 256
    .name:           _ZN9rocsparseL23check_matrix_csr_deviceILj256ELj64EdliEEvT3_S1_T2_PKT1_PKS2_PKS1_S9_21rocsparse_index_base_22rocsparse_matrix_type_20rocsparse_fill_mode_23rocsparse_storage_mode_P22rocsparse_data_status_
    .private_segment_fixed_size: 0
    .sgpr_count:     25
    .sgpr_spill_count: 0
    .symbol:         _ZN9rocsparseL23check_matrix_csr_deviceILj256ELj64EdliEEvT3_S1_T2_PKT1_PKS2_PKS1_S9_21rocsparse_index_base_22rocsparse_matrix_type_20rocsparse_fill_mode_23rocsparse_storage_mode_P22rocsparse_data_status_.kd
    .uniform_work_group_size: 1
    .uses_dynamic_stack: false
    .vgpr_count:     18
    .vgpr_spill_count: 0
    .wavefront_size: 32
  - .args:
      - .offset:         0
        .size:           4
        .value_kind:     by_value
      - .offset:         4
        .size:           4
        .value_kind:     by_value
      - .offset:         8
        .size:           8
        .value_kind:     by_value
      - .actual_access:  read_only
        .address_space:  global
        .offset:         16
        .size:           8
        .value_kind:     global_buffer
      - .actual_access:  read_only
        .address_space:  global
        .offset:         24
        .size:           8
        .value_kind:     global_buffer
      - .address_space:  global
        .offset:         32
        .size:           8
        .value_kind:     global_buffer
      - .address_space:  global
        .offset:         40
        .size:           8
        .value_kind:     global_buffer
      - .offset:         48
        .size:           4
        .value_kind:     by_value
      - .offset:         52
        .size:           4
        .value_kind:     by_value
      - .offset:         56
        .size:           4
        .value_kind:     by_value
      - .offset:         60
        .size:           4
        .value_kind:     by_value
      - .address_space:  global
        .offset:         64
        .size:           8
        .value_kind:     global_buffer
    .group_segment_fixed_size: 0
    .kernarg_segment_align: 8
    .kernarg_segment_size: 72
    .language:       OpenCL C
    .language_version:
      - 2
      - 0
    .max_flat_workgroup_size: 256
    .name:           _ZN9rocsparseL23check_matrix_csr_deviceILj256ELj128EdliEEvT3_S1_T2_PKT1_PKS2_PKS1_S9_21rocsparse_index_base_22rocsparse_matrix_type_20rocsparse_fill_mode_23rocsparse_storage_mode_P22rocsparse_data_status_
    .private_segment_fixed_size: 0
    .sgpr_count:     25
    .sgpr_spill_count: 0
    .symbol:         _ZN9rocsparseL23check_matrix_csr_deviceILj256ELj128EdliEEvT3_S1_T2_PKT1_PKS2_PKS1_S9_21rocsparse_index_base_22rocsparse_matrix_type_20rocsparse_fill_mode_23rocsparse_storage_mode_P22rocsparse_data_status_.kd
    .uniform_work_group_size: 1
    .uses_dynamic_stack: false
    .vgpr_count:     18
    .vgpr_spill_count: 0
    .wavefront_size: 32
  - .args:
      - .offset:         0
        .size:           4
        .value_kind:     by_value
      - .offset:         4
        .size:           4
        .value_kind:     by_value
      - .offset:         8
        .size:           8
        .value_kind:     by_value
      - .actual_access:  read_only
        .address_space:  global
        .offset:         16
        .size:           8
        .value_kind:     global_buffer
      - .actual_access:  read_only
        .address_space:  global
        .offset:         24
        .size:           8
        .value_kind:     global_buffer
      - .address_space:  global
        .offset:         32
        .size:           8
        .value_kind:     global_buffer
      - .address_space:  global
        .offset:         40
        .size:           8
        .value_kind:     global_buffer
      - .offset:         48
        .size:           4
        .value_kind:     by_value
      - .offset:         52
        .size:           4
        .value_kind:     by_value
      - .offset:         56
        .size:           4
        .value_kind:     by_value
      - .offset:         60
        .size:           4
        .value_kind:     by_value
      - .address_space:  global
        .offset:         64
        .size:           8
        .value_kind:     global_buffer
    .group_segment_fixed_size: 0
    .kernarg_segment_align: 8
    .kernarg_segment_size: 72
    .language:       OpenCL C
    .language_version:
      - 2
      - 0
    .max_flat_workgroup_size: 256
    .name:           _ZN9rocsparseL23check_matrix_csr_deviceILj256ELj256EdliEEvT3_S1_T2_PKT1_PKS2_PKS1_S9_21rocsparse_index_base_22rocsparse_matrix_type_20rocsparse_fill_mode_23rocsparse_storage_mode_P22rocsparse_data_status_
    .private_segment_fixed_size: 0
    .sgpr_count:     26
    .sgpr_spill_count: 0
    .symbol:         _ZN9rocsparseL23check_matrix_csr_deviceILj256ELj256EdliEEvT3_S1_T2_PKT1_PKS2_PKS1_S9_21rocsparse_index_base_22rocsparse_matrix_type_20rocsparse_fill_mode_23rocsparse_storage_mode_P22rocsparse_data_status_.kd
    .uniform_work_group_size: 1
    .uses_dynamic_stack: false
    .vgpr_count:     17
    .vgpr_spill_count: 0
    .wavefront_size: 32
  - .args:
      - .offset:         0
        .size:           4
        .value_kind:     by_value
      - .offset:         4
        .size:           4
        .value_kind:     by_value
      - .offset:         8
        .size:           8
        .value_kind:     by_value
      - .actual_access:  read_only
        .address_space:  global
        .offset:         16
        .size:           8
        .value_kind:     global_buffer
      - .actual_access:  read_only
        .address_space:  global
        .offset:         24
        .size:           8
        .value_kind:     global_buffer
      - .address_space:  global
        .offset:         32
        .size:           8
        .value_kind:     global_buffer
      - .address_space:  global
        .offset:         40
        .size:           8
        .value_kind:     global_buffer
      - .offset:         48
        .size:           4
        .value_kind:     by_value
      - .offset:         52
        .size:           4
        .value_kind:     by_value
      - .offset:         56
        .size:           4
        .value_kind:     by_value
      - .offset:         60
        .size:           4
        .value_kind:     by_value
      - .address_space:  global
        .offset:         64
        .size:           8
        .value_kind:     global_buffer
    .group_segment_fixed_size: 0
    .kernarg_segment_align: 8
    .kernarg_segment_size: 72
    .language:       OpenCL C
    .language_version:
      - 2
      - 0
    .max_flat_workgroup_size: 256
    .name:           _ZN9rocsparseL23check_matrix_csr_deviceILj256ELj4E21rocsparse_complex_numIfEliEEvT3_S3_T2_PKT1_PKS4_PKS3_SB_21rocsparse_index_base_22rocsparse_matrix_type_20rocsparse_fill_mode_23rocsparse_storage_mode_P22rocsparse_data_status_
    .private_segment_fixed_size: 0
    .sgpr_count:     25
    .sgpr_spill_count: 0
    .symbol:         _ZN9rocsparseL23check_matrix_csr_deviceILj256ELj4E21rocsparse_complex_numIfEliEEvT3_S3_T2_PKT1_PKS4_PKS3_SB_21rocsparse_index_base_22rocsparse_matrix_type_20rocsparse_fill_mode_23rocsparse_storage_mode_P22rocsparse_data_status_.kd
    .uniform_work_group_size: 1
    .uses_dynamic_stack: false
    .vgpr_count:     18
    .vgpr_spill_count: 0
    .wavefront_size: 32
  - .args:
      - .offset:         0
        .size:           4
        .value_kind:     by_value
      - .offset:         4
        .size:           4
        .value_kind:     by_value
      - .offset:         8
        .size:           8
        .value_kind:     by_value
      - .actual_access:  read_only
        .address_space:  global
        .offset:         16
        .size:           8
        .value_kind:     global_buffer
      - .actual_access:  read_only
        .address_space:  global
        .offset:         24
        .size:           8
        .value_kind:     global_buffer
      - .address_space:  global
        .offset:         32
        .size:           8
        .value_kind:     global_buffer
      - .address_space:  global
        .offset:         40
        .size:           8
        .value_kind:     global_buffer
      - .offset:         48
        .size:           4
        .value_kind:     by_value
      - .offset:         52
        .size:           4
        .value_kind:     by_value
      - .offset:         56
        .size:           4
        .value_kind:     by_value
      - .offset:         60
        .size:           4
        .value_kind:     by_value
      - .address_space:  global
        .offset:         64
        .size:           8
        .value_kind:     global_buffer
    .group_segment_fixed_size: 0
    .kernarg_segment_align: 8
    .kernarg_segment_size: 72
    .language:       OpenCL C
    .language_version:
      - 2
      - 0
    .max_flat_workgroup_size: 256
    .name:           _ZN9rocsparseL23check_matrix_csr_deviceILj256ELj8E21rocsparse_complex_numIfEliEEvT3_S3_T2_PKT1_PKS4_PKS3_SB_21rocsparse_index_base_22rocsparse_matrix_type_20rocsparse_fill_mode_23rocsparse_storage_mode_P22rocsparse_data_status_
    .private_segment_fixed_size: 0
    .sgpr_count:     25
    .sgpr_spill_count: 0
    .symbol:         _ZN9rocsparseL23check_matrix_csr_deviceILj256ELj8E21rocsparse_complex_numIfEliEEvT3_S3_T2_PKT1_PKS4_PKS3_SB_21rocsparse_index_base_22rocsparse_matrix_type_20rocsparse_fill_mode_23rocsparse_storage_mode_P22rocsparse_data_status_.kd
    .uniform_work_group_size: 1
    .uses_dynamic_stack: false
    .vgpr_count:     18
    .vgpr_spill_count: 0
    .wavefront_size: 32
  - .args:
      - .offset:         0
        .size:           4
        .value_kind:     by_value
      - .offset:         4
        .size:           4
        .value_kind:     by_value
      - .offset:         8
        .size:           8
        .value_kind:     by_value
      - .actual_access:  read_only
        .address_space:  global
        .offset:         16
        .size:           8
        .value_kind:     global_buffer
      - .actual_access:  read_only
        .address_space:  global
        .offset:         24
        .size:           8
        .value_kind:     global_buffer
      - .address_space:  global
        .offset:         32
        .size:           8
        .value_kind:     global_buffer
      - .address_space:  global
        .offset:         40
        .size:           8
        .value_kind:     global_buffer
      - .offset:         48
        .size:           4
        .value_kind:     by_value
      - .offset:         52
        .size:           4
        .value_kind:     by_value
      - .offset:         56
        .size:           4
        .value_kind:     by_value
      - .offset:         60
        .size:           4
        .value_kind:     by_value
      - .address_space:  global
        .offset:         64
        .size:           8
        .value_kind:     global_buffer
    .group_segment_fixed_size: 0
    .kernarg_segment_align: 8
    .kernarg_segment_size: 72
    .language:       OpenCL C
    .language_version:
      - 2
      - 0
    .max_flat_workgroup_size: 256
    .name:           _ZN9rocsparseL23check_matrix_csr_deviceILj256ELj16E21rocsparse_complex_numIfEliEEvT3_S3_T2_PKT1_PKS4_PKS3_SB_21rocsparse_index_base_22rocsparse_matrix_type_20rocsparse_fill_mode_23rocsparse_storage_mode_P22rocsparse_data_status_
    .private_segment_fixed_size: 0
    .sgpr_count:     25
    .sgpr_spill_count: 0
    .symbol:         _ZN9rocsparseL23check_matrix_csr_deviceILj256ELj16E21rocsparse_complex_numIfEliEEvT3_S3_T2_PKT1_PKS4_PKS3_SB_21rocsparse_index_base_22rocsparse_matrix_type_20rocsparse_fill_mode_23rocsparse_storage_mode_P22rocsparse_data_status_.kd
    .uniform_work_group_size: 1
    .uses_dynamic_stack: false
    .vgpr_count:     18
    .vgpr_spill_count: 0
    .wavefront_size: 32
  - .args:
      - .offset:         0
        .size:           4
        .value_kind:     by_value
      - .offset:         4
        .size:           4
        .value_kind:     by_value
      - .offset:         8
        .size:           8
        .value_kind:     by_value
      - .actual_access:  read_only
        .address_space:  global
        .offset:         16
        .size:           8
        .value_kind:     global_buffer
      - .actual_access:  read_only
        .address_space:  global
        .offset:         24
        .size:           8
        .value_kind:     global_buffer
      - .address_space:  global
        .offset:         32
        .size:           8
        .value_kind:     global_buffer
      - .address_space:  global
        .offset:         40
        .size:           8
        .value_kind:     global_buffer
      - .offset:         48
        .size:           4
        .value_kind:     by_value
      - .offset:         52
        .size:           4
        .value_kind:     by_value
      - .offset:         56
        .size:           4
        .value_kind:     by_value
      - .offset:         60
        .size:           4
        .value_kind:     by_value
      - .address_space:  global
        .offset:         64
        .size:           8
        .value_kind:     global_buffer
    .group_segment_fixed_size: 0
    .kernarg_segment_align: 8
    .kernarg_segment_size: 72
    .language:       OpenCL C
    .language_version:
      - 2
      - 0
    .max_flat_workgroup_size: 256
    .name:           _ZN9rocsparseL23check_matrix_csr_deviceILj256ELj32E21rocsparse_complex_numIfEliEEvT3_S3_T2_PKT1_PKS4_PKS3_SB_21rocsparse_index_base_22rocsparse_matrix_type_20rocsparse_fill_mode_23rocsparse_storage_mode_P22rocsparse_data_status_
    .private_segment_fixed_size: 0
    .sgpr_count:     25
    .sgpr_spill_count: 0
    .symbol:         _ZN9rocsparseL23check_matrix_csr_deviceILj256ELj32E21rocsparse_complex_numIfEliEEvT3_S3_T2_PKT1_PKS4_PKS3_SB_21rocsparse_index_base_22rocsparse_matrix_type_20rocsparse_fill_mode_23rocsparse_storage_mode_P22rocsparse_data_status_.kd
    .uniform_work_group_size: 1
    .uses_dynamic_stack: false
    .vgpr_count:     18
    .vgpr_spill_count: 0
    .wavefront_size: 32
  - .args:
      - .offset:         0
        .size:           4
        .value_kind:     by_value
      - .offset:         4
        .size:           4
        .value_kind:     by_value
      - .offset:         8
        .size:           8
        .value_kind:     by_value
      - .actual_access:  read_only
        .address_space:  global
        .offset:         16
        .size:           8
        .value_kind:     global_buffer
      - .actual_access:  read_only
        .address_space:  global
        .offset:         24
        .size:           8
        .value_kind:     global_buffer
      - .address_space:  global
        .offset:         32
        .size:           8
        .value_kind:     global_buffer
      - .address_space:  global
        .offset:         40
        .size:           8
        .value_kind:     global_buffer
      - .offset:         48
        .size:           4
        .value_kind:     by_value
      - .offset:         52
        .size:           4
        .value_kind:     by_value
      - .offset:         56
        .size:           4
        .value_kind:     by_value
      - .offset:         60
        .size:           4
        .value_kind:     by_value
      - .address_space:  global
        .offset:         64
        .size:           8
        .value_kind:     global_buffer
    .group_segment_fixed_size: 0
    .kernarg_segment_align: 8
    .kernarg_segment_size: 72
    .language:       OpenCL C
    .language_version:
      - 2
      - 0
    .max_flat_workgroup_size: 256
    .name:           _ZN9rocsparseL23check_matrix_csr_deviceILj256ELj64E21rocsparse_complex_numIfEliEEvT3_S3_T2_PKT1_PKS4_PKS3_SB_21rocsparse_index_base_22rocsparse_matrix_type_20rocsparse_fill_mode_23rocsparse_storage_mode_P22rocsparse_data_status_
    .private_segment_fixed_size: 0
    .sgpr_count:     25
    .sgpr_spill_count: 0
    .symbol:         _ZN9rocsparseL23check_matrix_csr_deviceILj256ELj64E21rocsparse_complex_numIfEliEEvT3_S3_T2_PKT1_PKS4_PKS3_SB_21rocsparse_index_base_22rocsparse_matrix_type_20rocsparse_fill_mode_23rocsparse_storage_mode_P22rocsparse_data_status_.kd
    .uniform_work_group_size: 1
    .uses_dynamic_stack: false
    .vgpr_count:     18
    .vgpr_spill_count: 0
    .wavefront_size: 32
  - .args:
      - .offset:         0
        .size:           4
        .value_kind:     by_value
      - .offset:         4
        .size:           4
        .value_kind:     by_value
      - .offset:         8
        .size:           8
        .value_kind:     by_value
      - .actual_access:  read_only
        .address_space:  global
        .offset:         16
        .size:           8
        .value_kind:     global_buffer
      - .actual_access:  read_only
        .address_space:  global
        .offset:         24
        .size:           8
        .value_kind:     global_buffer
      - .address_space:  global
        .offset:         32
        .size:           8
        .value_kind:     global_buffer
      - .address_space:  global
        .offset:         40
        .size:           8
        .value_kind:     global_buffer
      - .offset:         48
        .size:           4
        .value_kind:     by_value
      - .offset:         52
        .size:           4
        .value_kind:     by_value
      - .offset:         56
        .size:           4
        .value_kind:     by_value
      - .offset:         60
        .size:           4
        .value_kind:     by_value
      - .address_space:  global
        .offset:         64
        .size:           8
        .value_kind:     global_buffer
    .group_segment_fixed_size: 0
    .kernarg_segment_align: 8
    .kernarg_segment_size: 72
    .language:       OpenCL C
    .language_version:
      - 2
      - 0
    .max_flat_workgroup_size: 256
    .name:           _ZN9rocsparseL23check_matrix_csr_deviceILj256ELj128E21rocsparse_complex_numIfEliEEvT3_S3_T2_PKT1_PKS4_PKS3_SB_21rocsparse_index_base_22rocsparse_matrix_type_20rocsparse_fill_mode_23rocsparse_storage_mode_P22rocsparse_data_status_
    .private_segment_fixed_size: 0
    .sgpr_count:     25
    .sgpr_spill_count: 0
    .symbol:         _ZN9rocsparseL23check_matrix_csr_deviceILj256ELj128E21rocsparse_complex_numIfEliEEvT3_S3_T2_PKT1_PKS4_PKS3_SB_21rocsparse_index_base_22rocsparse_matrix_type_20rocsparse_fill_mode_23rocsparse_storage_mode_P22rocsparse_data_status_.kd
    .uniform_work_group_size: 1
    .uses_dynamic_stack: false
    .vgpr_count:     18
    .vgpr_spill_count: 0
    .wavefront_size: 32
  - .args:
      - .offset:         0
        .size:           4
        .value_kind:     by_value
      - .offset:         4
        .size:           4
        .value_kind:     by_value
      - .offset:         8
        .size:           8
        .value_kind:     by_value
      - .actual_access:  read_only
        .address_space:  global
        .offset:         16
        .size:           8
        .value_kind:     global_buffer
      - .actual_access:  read_only
        .address_space:  global
        .offset:         24
        .size:           8
        .value_kind:     global_buffer
      - .address_space:  global
        .offset:         32
        .size:           8
        .value_kind:     global_buffer
      - .address_space:  global
        .offset:         40
        .size:           8
        .value_kind:     global_buffer
      - .offset:         48
        .size:           4
        .value_kind:     by_value
      - .offset:         52
        .size:           4
        .value_kind:     by_value
      - .offset:         56
        .size:           4
        .value_kind:     by_value
      - .offset:         60
        .size:           4
        .value_kind:     by_value
      - .address_space:  global
        .offset:         64
        .size:           8
        .value_kind:     global_buffer
    .group_segment_fixed_size: 0
    .kernarg_segment_align: 8
    .kernarg_segment_size: 72
    .language:       OpenCL C
    .language_version:
      - 2
      - 0
    .max_flat_workgroup_size: 256
    .name:           _ZN9rocsparseL23check_matrix_csr_deviceILj256ELj256E21rocsparse_complex_numIfEliEEvT3_S3_T2_PKT1_PKS4_PKS3_SB_21rocsparse_index_base_22rocsparse_matrix_type_20rocsparse_fill_mode_23rocsparse_storage_mode_P22rocsparse_data_status_
    .private_segment_fixed_size: 0
    .sgpr_count:     26
    .sgpr_spill_count: 0
    .symbol:         _ZN9rocsparseL23check_matrix_csr_deviceILj256ELj256E21rocsparse_complex_numIfEliEEvT3_S3_T2_PKT1_PKS4_PKS3_SB_21rocsparse_index_base_22rocsparse_matrix_type_20rocsparse_fill_mode_23rocsparse_storage_mode_P22rocsparse_data_status_.kd
    .uniform_work_group_size: 1
    .uses_dynamic_stack: false
    .vgpr_count:     17
    .vgpr_spill_count: 0
    .wavefront_size: 32
  - .args:
      - .offset:         0
        .size:           4
        .value_kind:     by_value
      - .offset:         4
        .size:           4
        .value_kind:     by_value
      - .offset:         8
        .size:           8
        .value_kind:     by_value
      - .actual_access:  read_only
        .address_space:  global
        .offset:         16
        .size:           8
        .value_kind:     global_buffer
      - .actual_access:  read_only
        .address_space:  global
        .offset:         24
        .size:           8
        .value_kind:     global_buffer
      - .address_space:  global
        .offset:         32
        .size:           8
        .value_kind:     global_buffer
      - .address_space:  global
        .offset:         40
        .size:           8
        .value_kind:     global_buffer
      - .offset:         48
        .size:           4
        .value_kind:     by_value
      - .offset:         52
        .size:           4
        .value_kind:     by_value
      - .offset:         56
        .size:           4
        .value_kind:     by_value
      - .offset:         60
        .size:           4
        .value_kind:     by_value
      - .address_space:  global
        .offset:         64
        .size:           8
        .value_kind:     global_buffer
    .group_segment_fixed_size: 0
    .kernarg_segment_align: 8
    .kernarg_segment_size: 72
    .language:       OpenCL C
    .language_version:
      - 2
      - 0
    .max_flat_workgroup_size: 256
    .name:           _ZN9rocsparseL23check_matrix_csr_deviceILj256ELj4E21rocsparse_complex_numIdEliEEvT3_S3_T2_PKT1_PKS4_PKS3_SB_21rocsparse_index_base_22rocsparse_matrix_type_20rocsparse_fill_mode_23rocsparse_storage_mode_P22rocsparse_data_status_
    .private_segment_fixed_size: 0
    .sgpr_count:     25
    .sgpr_spill_count: 0
    .symbol:         _ZN9rocsparseL23check_matrix_csr_deviceILj256ELj4E21rocsparse_complex_numIdEliEEvT3_S3_T2_PKT1_PKS4_PKS3_SB_21rocsparse_index_base_22rocsparse_matrix_type_20rocsparse_fill_mode_23rocsparse_storage_mode_P22rocsparse_data_status_.kd
    .uniform_work_group_size: 1
    .uses_dynamic_stack: false
    .vgpr_count:     20
    .vgpr_spill_count: 0
    .wavefront_size: 32
  - .args:
      - .offset:         0
        .size:           4
        .value_kind:     by_value
      - .offset:         4
        .size:           4
        .value_kind:     by_value
      - .offset:         8
        .size:           8
        .value_kind:     by_value
      - .actual_access:  read_only
        .address_space:  global
        .offset:         16
        .size:           8
        .value_kind:     global_buffer
      - .actual_access:  read_only
        .address_space:  global
        .offset:         24
        .size:           8
        .value_kind:     global_buffer
      - .address_space:  global
        .offset:         32
        .size:           8
        .value_kind:     global_buffer
      - .address_space:  global
        .offset:         40
        .size:           8
        .value_kind:     global_buffer
      - .offset:         48
        .size:           4
        .value_kind:     by_value
      - .offset:         52
        .size:           4
        .value_kind:     by_value
      - .offset:         56
        .size:           4
        .value_kind:     by_value
      - .offset:         60
        .size:           4
        .value_kind:     by_value
      - .address_space:  global
        .offset:         64
        .size:           8
        .value_kind:     global_buffer
    .group_segment_fixed_size: 0
    .kernarg_segment_align: 8
    .kernarg_segment_size: 72
    .language:       OpenCL C
    .language_version:
      - 2
      - 0
    .max_flat_workgroup_size: 256
    .name:           _ZN9rocsparseL23check_matrix_csr_deviceILj256ELj8E21rocsparse_complex_numIdEliEEvT3_S3_T2_PKT1_PKS4_PKS3_SB_21rocsparse_index_base_22rocsparse_matrix_type_20rocsparse_fill_mode_23rocsparse_storage_mode_P22rocsparse_data_status_
    .private_segment_fixed_size: 0
    .sgpr_count:     25
    .sgpr_spill_count: 0
    .symbol:         _ZN9rocsparseL23check_matrix_csr_deviceILj256ELj8E21rocsparse_complex_numIdEliEEvT3_S3_T2_PKT1_PKS4_PKS3_SB_21rocsparse_index_base_22rocsparse_matrix_type_20rocsparse_fill_mode_23rocsparse_storage_mode_P22rocsparse_data_status_.kd
    .uniform_work_group_size: 1
    .uses_dynamic_stack: false
    .vgpr_count:     20
    .vgpr_spill_count: 0
    .wavefront_size: 32
  - .args:
      - .offset:         0
        .size:           4
        .value_kind:     by_value
      - .offset:         4
        .size:           4
        .value_kind:     by_value
      - .offset:         8
        .size:           8
        .value_kind:     by_value
      - .actual_access:  read_only
        .address_space:  global
        .offset:         16
        .size:           8
        .value_kind:     global_buffer
      - .actual_access:  read_only
        .address_space:  global
        .offset:         24
        .size:           8
        .value_kind:     global_buffer
      - .address_space:  global
        .offset:         32
        .size:           8
        .value_kind:     global_buffer
      - .address_space:  global
        .offset:         40
        .size:           8
        .value_kind:     global_buffer
      - .offset:         48
        .size:           4
        .value_kind:     by_value
      - .offset:         52
        .size:           4
        .value_kind:     by_value
      - .offset:         56
        .size:           4
        .value_kind:     by_value
      - .offset:         60
        .size:           4
        .value_kind:     by_value
      - .address_space:  global
        .offset:         64
        .size:           8
        .value_kind:     global_buffer
    .group_segment_fixed_size: 0
    .kernarg_segment_align: 8
    .kernarg_segment_size: 72
    .language:       OpenCL C
    .language_version:
      - 2
      - 0
    .max_flat_workgroup_size: 256
    .name:           _ZN9rocsparseL23check_matrix_csr_deviceILj256ELj16E21rocsparse_complex_numIdEliEEvT3_S3_T2_PKT1_PKS4_PKS3_SB_21rocsparse_index_base_22rocsparse_matrix_type_20rocsparse_fill_mode_23rocsparse_storage_mode_P22rocsparse_data_status_
    .private_segment_fixed_size: 0
    .sgpr_count:     25
    .sgpr_spill_count: 0
    .symbol:         _ZN9rocsparseL23check_matrix_csr_deviceILj256ELj16E21rocsparse_complex_numIdEliEEvT3_S3_T2_PKT1_PKS4_PKS3_SB_21rocsparse_index_base_22rocsparse_matrix_type_20rocsparse_fill_mode_23rocsparse_storage_mode_P22rocsparse_data_status_.kd
    .uniform_work_group_size: 1
    .uses_dynamic_stack: false
    .vgpr_count:     20
    .vgpr_spill_count: 0
    .wavefront_size: 32
  - .args:
      - .offset:         0
        .size:           4
        .value_kind:     by_value
      - .offset:         4
        .size:           4
        .value_kind:     by_value
      - .offset:         8
        .size:           8
        .value_kind:     by_value
      - .actual_access:  read_only
        .address_space:  global
        .offset:         16
        .size:           8
        .value_kind:     global_buffer
      - .actual_access:  read_only
        .address_space:  global
        .offset:         24
        .size:           8
        .value_kind:     global_buffer
      - .address_space:  global
        .offset:         32
        .size:           8
        .value_kind:     global_buffer
      - .address_space:  global
        .offset:         40
        .size:           8
        .value_kind:     global_buffer
      - .offset:         48
        .size:           4
        .value_kind:     by_value
      - .offset:         52
        .size:           4
        .value_kind:     by_value
      - .offset:         56
        .size:           4
        .value_kind:     by_value
      - .offset:         60
        .size:           4
        .value_kind:     by_value
      - .address_space:  global
        .offset:         64
        .size:           8
        .value_kind:     global_buffer
    .group_segment_fixed_size: 0
    .kernarg_segment_align: 8
    .kernarg_segment_size: 72
    .language:       OpenCL C
    .language_version:
      - 2
      - 0
    .max_flat_workgroup_size: 256
    .name:           _ZN9rocsparseL23check_matrix_csr_deviceILj256ELj32E21rocsparse_complex_numIdEliEEvT3_S3_T2_PKT1_PKS4_PKS3_SB_21rocsparse_index_base_22rocsparse_matrix_type_20rocsparse_fill_mode_23rocsparse_storage_mode_P22rocsparse_data_status_
    .private_segment_fixed_size: 0
    .sgpr_count:     25
    .sgpr_spill_count: 0
    .symbol:         _ZN9rocsparseL23check_matrix_csr_deviceILj256ELj32E21rocsparse_complex_numIdEliEEvT3_S3_T2_PKT1_PKS4_PKS3_SB_21rocsparse_index_base_22rocsparse_matrix_type_20rocsparse_fill_mode_23rocsparse_storage_mode_P22rocsparse_data_status_.kd
    .uniform_work_group_size: 1
    .uses_dynamic_stack: false
    .vgpr_count:     20
    .vgpr_spill_count: 0
    .wavefront_size: 32
  - .args:
      - .offset:         0
        .size:           4
        .value_kind:     by_value
      - .offset:         4
        .size:           4
        .value_kind:     by_value
      - .offset:         8
        .size:           8
        .value_kind:     by_value
      - .actual_access:  read_only
        .address_space:  global
        .offset:         16
        .size:           8
        .value_kind:     global_buffer
      - .actual_access:  read_only
        .address_space:  global
        .offset:         24
        .size:           8
        .value_kind:     global_buffer
      - .address_space:  global
        .offset:         32
        .size:           8
        .value_kind:     global_buffer
      - .address_space:  global
        .offset:         40
        .size:           8
        .value_kind:     global_buffer
      - .offset:         48
        .size:           4
        .value_kind:     by_value
      - .offset:         52
        .size:           4
        .value_kind:     by_value
      - .offset:         56
        .size:           4
        .value_kind:     by_value
      - .offset:         60
        .size:           4
        .value_kind:     by_value
      - .address_space:  global
        .offset:         64
        .size:           8
        .value_kind:     global_buffer
    .group_segment_fixed_size: 0
    .kernarg_segment_align: 8
    .kernarg_segment_size: 72
    .language:       OpenCL C
    .language_version:
      - 2
      - 0
    .max_flat_workgroup_size: 256
    .name:           _ZN9rocsparseL23check_matrix_csr_deviceILj256ELj64E21rocsparse_complex_numIdEliEEvT3_S3_T2_PKT1_PKS4_PKS3_SB_21rocsparse_index_base_22rocsparse_matrix_type_20rocsparse_fill_mode_23rocsparse_storage_mode_P22rocsparse_data_status_
    .private_segment_fixed_size: 0
    .sgpr_count:     25
    .sgpr_spill_count: 0
    .symbol:         _ZN9rocsparseL23check_matrix_csr_deviceILj256ELj64E21rocsparse_complex_numIdEliEEvT3_S3_T2_PKT1_PKS4_PKS3_SB_21rocsparse_index_base_22rocsparse_matrix_type_20rocsparse_fill_mode_23rocsparse_storage_mode_P22rocsparse_data_status_.kd
    .uniform_work_group_size: 1
    .uses_dynamic_stack: false
    .vgpr_count:     20
    .vgpr_spill_count: 0
    .wavefront_size: 32
  - .args:
      - .offset:         0
        .size:           4
        .value_kind:     by_value
      - .offset:         4
        .size:           4
        .value_kind:     by_value
      - .offset:         8
        .size:           8
        .value_kind:     by_value
      - .actual_access:  read_only
        .address_space:  global
        .offset:         16
        .size:           8
        .value_kind:     global_buffer
      - .actual_access:  read_only
        .address_space:  global
        .offset:         24
        .size:           8
        .value_kind:     global_buffer
      - .address_space:  global
        .offset:         32
        .size:           8
        .value_kind:     global_buffer
      - .address_space:  global
        .offset:         40
        .size:           8
        .value_kind:     global_buffer
      - .offset:         48
        .size:           4
        .value_kind:     by_value
      - .offset:         52
        .size:           4
        .value_kind:     by_value
      - .offset:         56
        .size:           4
        .value_kind:     by_value
      - .offset:         60
        .size:           4
        .value_kind:     by_value
      - .address_space:  global
        .offset:         64
        .size:           8
        .value_kind:     global_buffer
    .group_segment_fixed_size: 0
    .kernarg_segment_align: 8
    .kernarg_segment_size: 72
    .language:       OpenCL C
    .language_version:
      - 2
      - 0
    .max_flat_workgroup_size: 256
    .name:           _ZN9rocsparseL23check_matrix_csr_deviceILj256ELj128E21rocsparse_complex_numIdEliEEvT3_S3_T2_PKT1_PKS4_PKS3_SB_21rocsparse_index_base_22rocsparse_matrix_type_20rocsparse_fill_mode_23rocsparse_storage_mode_P22rocsparse_data_status_
    .private_segment_fixed_size: 0
    .sgpr_count:     25
    .sgpr_spill_count: 0
    .symbol:         _ZN9rocsparseL23check_matrix_csr_deviceILj256ELj128E21rocsparse_complex_numIdEliEEvT3_S3_T2_PKT1_PKS4_PKS3_SB_21rocsparse_index_base_22rocsparse_matrix_type_20rocsparse_fill_mode_23rocsparse_storage_mode_P22rocsparse_data_status_.kd
    .uniform_work_group_size: 1
    .uses_dynamic_stack: false
    .vgpr_count:     20
    .vgpr_spill_count: 0
    .wavefront_size: 32
  - .args:
      - .offset:         0
        .size:           4
        .value_kind:     by_value
      - .offset:         4
        .size:           4
        .value_kind:     by_value
      - .offset:         8
        .size:           8
        .value_kind:     by_value
      - .actual_access:  read_only
        .address_space:  global
        .offset:         16
        .size:           8
        .value_kind:     global_buffer
      - .actual_access:  read_only
        .address_space:  global
        .offset:         24
        .size:           8
        .value_kind:     global_buffer
      - .address_space:  global
        .offset:         32
        .size:           8
        .value_kind:     global_buffer
      - .address_space:  global
        .offset:         40
        .size:           8
        .value_kind:     global_buffer
      - .offset:         48
        .size:           4
        .value_kind:     by_value
      - .offset:         52
        .size:           4
        .value_kind:     by_value
      - .offset:         56
        .size:           4
        .value_kind:     by_value
      - .offset:         60
        .size:           4
        .value_kind:     by_value
      - .address_space:  global
        .offset:         64
        .size:           8
        .value_kind:     global_buffer
    .group_segment_fixed_size: 0
    .kernarg_segment_align: 8
    .kernarg_segment_size: 72
    .language:       OpenCL C
    .language_version:
      - 2
      - 0
    .max_flat_workgroup_size: 256
    .name:           _ZN9rocsparseL23check_matrix_csr_deviceILj256ELj256E21rocsparse_complex_numIdEliEEvT3_S3_T2_PKT1_PKS4_PKS3_SB_21rocsparse_index_base_22rocsparse_matrix_type_20rocsparse_fill_mode_23rocsparse_storage_mode_P22rocsparse_data_status_
    .private_segment_fixed_size: 0
    .sgpr_count:     26
    .sgpr_spill_count: 0
    .symbol:         _ZN9rocsparseL23check_matrix_csr_deviceILj256ELj256E21rocsparse_complex_numIdEliEEvT3_S3_T2_PKT1_PKS4_PKS3_SB_21rocsparse_index_base_22rocsparse_matrix_type_20rocsparse_fill_mode_23rocsparse_storage_mode_P22rocsparse_data_status_.kd
    .uniform_work_group_size: 1
    .uses_dynamic_stack: false
    .vgpr_count:     19
    .vgpr_spill_count: 0
    .wavefront_size: 32
  - .args:
      - .offset:         0
        .size:           8
        .value_kind:     by_value
      - .actual_access:  read_only
        .address_space:  global
        .offset:         8
        .size:           8
        .value_kind:     global_buffer
      - .address_space:  global
        .offset:         16
        .size:           8
        .value_kind:     global_buffer
    .group_segment_fixed_size: 0
    .kernarg_segment_align: 8
    .kernarg_segment_size: 24
    .language:       OpenCL C
    .language_version:
      - 2
      - 0
    .max_flat_workgroup_size: 256
    .name:           _ZN9rocsparseL19check_row_ptr_arrayILj256EllEEvT1_PKT0_P22rocsparse_data_status_
    .private_segment_fixed_size: 0
    .sgpr_count:     9
    .sgpr_spill_count: 0
    .symbol:         _ZN9rocsparseL19check_row_ptr_arrayILj256EllEEvT1_PKT0_P22rocsparse_data_status_.kd
    .uniform_work_group_size: 1
    .uses_dynamic_stack: false
    .vgpr_count:     6
    .vgpr_spill_count: 0
    .wavefront_size: 32
  - .args:
      - .offset:         0
        .size:           8
        .value_kind:     by_value
      - .actual_access:  read_only
        .address_space:  global
        .offset:         8
        .size:           8
        .value_kind:     global_buffer
      - .actual_access:  write_only
        .address_space:  global
        .offset:         16
        .size:           8
        .value_kind:     global_buffer
    .group_segment_fixed_size: 0
    .kernarg_segment_align: 8
    .kernarg_segment_size: 24
    .language:       OpenCL C
    .language_version:
      - 2
      - 0
    .max_flat_workgroup_size: 512
    .name:           _ZN9rocsparseL20shift_offsets_kernelILj512EllEEvT1_PKT0_PS2_
    .private_segment_fixed_size: 0
    .sgpr_count:     10
    .sgpr_spill_count: 0
    .symbol:         _ZN9rocsparseL20shift_offsets_kernelILj512EllEEvT1_PKT0_PS2_.kd
    .uniform_work_group_size: 1
    .uses_dynamic_stack: false
    .vgpr_count:     4
    .vgpr_spill_count: 0
    .wavefront_size: 32
  - .args:
      - .offset:         0
        .size:           8
        .value_kind:     by_value
      - .offset:         8
        .size:           8
        .value_kind:     by_value
      - .offset:         16
        .size:           8
        .value_kind:     by_value
      - .actual_access:  read_only
        .address_space:  global
        .offset:         24
        .size:           8
        .value_kind:     global_buffer
      - .actual_access:  read_only
        .address_space:  global
        .offset:         32
        .size:           8
        .value_kind:     global_buffer
      - .address_space:  global
        .offset:         40
        .size:           8
        .value_kind:     global_buffer
      - .address_space:  global
        .offset:         48
        .size:           8
        .value_kind:     global_buffer
      - .offset:         56
        .size:           4
        .value_kind:     by_value
      - .offset:         60
        .size:           4
        .value_kind:     by_value
      - .offset:         64
        .size:           4
        .value_kind:     by_value
      - .offset:         68
        .size:           4
        .value_kind:     by_value
      - .address_space:  global
        .offset:         72
        .size:           8
        .value_kind:     global_buffer
    .group_segment_fixed_size: 0
    .kernarg_segment_align: 8
    .kernarg_segment_size: 80
    .language:       OpenCL C
    .language_version:
      - 2
      - 0
    .max_flat_workgroup_size: 256
    .name:           _ZN9rocsparseL23check_matrix_csr_deviceILj256ELj4EfllEEvT3_S1_T2_PKT1_PKS2_PKS1_S9_21rocsparse_index_base_22rocsparse_matrix_type_20rocsparse_fill_mode_23rocsparse_storage_mode_P22rocsparse_data_status_
    .private_segment_fixed_size: 0
    .sgpr_count:     27
    .sgpr_spill_count: 0
    .symbol:         _ZN9rocsparseL23check_matrix_csr_deviceILj256ELj4EfllEEvT3_S1_T2_PKT1_PKS2_PKS1_S9_21rocsparse_index_base_22rocsparse_matrix_type_20rocsparse_fill_mode_23rocsparse_storage_mode_P22rocsparse_data_status_.kd
    .uniform_work_group_size: 1
    .uses_dynamic_stack: false
    .vgpr_count:     24
    .vgpr_spill_count: 0
    .wavefront_size: 32
  - .args:
      - .offset:         0
        .size:           8
        .value_kind:     by_value
      - .offset:         8
        .size:           8
        .value_kind:     by_value
      - .offset:         16
        .size:           8
        .value_kind:     by_value
      - .actual_access:  read_only
        .address_space:  global
        .offset:         24
        .size:           8
        .value_kind:     global_buffer
      - .actual_access:  read_only
        .address_space:  global
        .offset:         32
        .size:           8
        .value_kind:     global_buffer
      - .address_space:  global
        .offset:         40
        .size:           8
        .value_kind:     global_buffer
      - .address_space:  global
        .offset:         48
        .size:           8
        .value_kind:     global_buffer
      - .offset:         56
        .size:           4
        .value_kind:     by_value
      - .offset:         60
        .size:           4
        .value_kind:     by_value
      - .offset:         64
        .size:           4
        .value_kind:     by_value
      - .offset:         68
        .size:           4
        .value_kind:     by_value
      - .address_space:  global
        .offset:         72
        .size:           8
        .value_kind:     global_buffer
    .group_segment_fixed_size: 0
    .kernarg_segment_align: 8
    .kernarg_segment_size: 80
    .language:       OpenCL C
    .language_version:
      - 2
      - 0
    .max_flat_workgroup_size: 256
    .name:           _ZN9rocsparseL23check_matrix_csr_deviceILj256ELj8EfllEEvT3_S1_T2_PKT1_PKS2_PKS1_S9_21rocsparse_index_base_22rocsparse_matrix_type_20rocsparse_fill_mode_23rocsparse_storage_mode_P22rocsparse_data_status_
    .private_segment_fixed_size: 0
    .sgpr_count:     27
    .sgpr_spill_count: 0
    .symbol:         _ZN9rocsparseL23check_matrix_csr_deviceILj256ELj8EfllEEvT3_S1_T2_PKT1_PKS2_PKS1_S9_21rocsparse_index_base_22rocsparse_matrix_type_20rocsparse_fill_mode_23rocsparse_storage_mode_P22rocsparse_data_status_.kd
    .uniform_work_group_size: 1
    .uses_dynamic_stack: false
    .vgpr_count:     24
    .vgpr_spill_count: 0
    .wavefront_size: 32
  - .args:
      - .offset:         0
        .size:           8
        .value_kind:     by_value
      - .offset:         8
        .size:           8
        .value_kind:     by_value
      - .offset:         16
        .size:           8
        .value_kind:     by_value
      - .actual_access:  read_only
        .address_space:  global
        .offset:         24
        .size:           8
        .value_kind:     global_buffer
      - .actual_access:  read_only
        .address_space:  global
        .offset:         32
        .size:           8
        .value_kind:     global_buffer
      - .address_space:  global
        .offset:         40
        .size:           8
        .value_kind:     global_buffer
      - .address_space:  global
        .offset:         48
        .size:           8
        .value_kind:     global_buffer
      - .offset:         56
        .size:           4
        .value_kind:     by_value
      - .offset:         60
        .size:           4
        .value_kind:     by_value
      - .offset:         64
        .size:           4
        .value_kind:     by_value
      - .offset:         68
        .size:           4
        .value_kind:     by_value
      - .address_space:  global
        .offset:         72
        .size:           8
        .value_kind:     global_buffer
    .group_segment_fixed_size: 0
    .kernarg_segment_align: 8
    .kernarg_segment_size: 80
    .language:       OpenCL C
    .language_version:
      - 2
      - 0
    .max_flat_workgroup_size: 256
    .name:           _ZN9rocsparseL23check_matrix_csr_deviceILj256ELj16EfllEEvT3_S1_T2_PKT1_PKS2_PKS1_S9_21rocsparse_index_base_22rocsparse_matrix_type_20rocsparse_fill_mode_23rocsparse_storage_mode_P22rocsparse_data_status_
    .private_segment_fixed_size: 0
    .sgpr_count:     27
    .sgpr_spill_count: 0
    .symbol:         _ZN9rocsparseL23check_matrix_csr_deviceILj256ELj16EfllEEvT3_S1_T2_PKT1_PKS2_PKS1_S9_21rocsparse_index_base_22rocsparse_matrix_type_20rocsparse_fill_mode_23rocsparse_storage_mode_P22rocsparse_data_status_.kd
    .uniform_work_group_size: 1
    .uses_dynamic_stack: false
    .vgpr_count:     24
    .vgpr_spill_count: 0
    .wavefront_size: 32
  - .args:
      - .offset:         0
        .size:           8
        .value_kind:     by_value
      - .offset:         8
        .size:           8
        .value_kind:     by_value
      - .offset:         16
        .size:           8
        .value_kind:     by_value
      - .actual_access:  read_only
        .address_space:  global
        .offset:         24
        .size:           8
        .value_kind:     global_buffer
      - .actual_access:  read_only
        .address_space:  global
        .offset:         32
        .size:           8
        .value_kind:     global_buffer
      - .address_space:  global
        .offset:         40
        .size:           8
        .value_kind:     global_buffer
      - .address_space:  global
        .offset:         48
        .size:           8
        .value_kind:     global_buffer
      - .offset:         56
        .size:           4
        .value_kind:     by_value
      - .offset:         60
        .size:           4
        .value_kind:     by_value
      - .offset:         64
        .size:           4
        .value_kind:     by_value
      - .offset:         68
        .size:           4
        .value_kind:     by_value
      - .address_space:  global
        .offset:         72
        .size:           8
        .value_kind:     global_buffer
    .group_segment_fixed_size: 0
    .kernarg_segment_align: 8
    .kernarg_segment_size: 80
    .language:       OpenCL C
    .language_version:
      - 2
      - 0
    .max_flat_workgroup_size: 256
    .name:           _ZN9rocsparseL23check_matrix_csr_deviceILj256ELj32EfllEEvT3_S1_T2_PKT1_PKS2_PKS1_S9_21rocsparse_index_base_22rocsparse_matrix_type_20rocsparse_fill_mode_23rocsparse_storage_mode_P22rocsparse_data_status_
    .private_segment_fixed_size: 0
    .sgpr_count:     27
    .sgpr_spill_count: 0
    .symbol:         _ZN9rocsparseL23check_matrix_csr_deviceILj256ELj32EfllEEvT3_S1_T2_PKT1_PKS2_PKS1_S9_21rocsparse_index_base_22rocsparse_matrix_type_20rocsparse_fill_mode_23rocsparse_storage_mode_P22rocsparse_data_status_.kd
    .uniform_work_group_size: 1
    .uses_dynamic_stack: false
    .vgpr_count:     24
    .vgpr_spill_count: 0
    .wavefront_size: 32
  - .args:
      - .offset:         0
        .size:           8
        .value_kind:     by_value
      - .offset:         8
        .size:           8
        .value_kind:     by_value
      - .offset:         16
        .size:           8
        .value_kind:     by_value
      - .actual_access:  read_only
        .address_space:  global
        .offset:         24
        .size:           8
        .value_kind:     global_buffer
      - .actual_access:  read_only
        .address_space:  global
        .offset:         32
        .size:           8
        .value_kind:     global_buffer
      - .address_space:  global
        .offset:         40
        .size:           8
        .value_kind:     global_buffer
      - .address_space:  global
        .offset:         48
        .size:           8
        .value_kind:     global_buffer
      - .offset:         56
        .size:           4
        .value_kind:     by_value
      - .offset:         60
        .size:           4
        .value_kind:     by_value
      - .offset:         64
        .size:           4
        .value_kind:     by_value
      - .offset:         68
        .size:           4
        .value_kind:     by_value
      - .address_space:  global
        .offset:         72
        .size:           8
        .value_kind:     global_buffer
    .group_segment_fixed_size: 0
    .kernarg_segment_align: 8
    .kernarg_segment_size: 80
    .language:       OpenCL C
    .language_version:
      - 2
      - 0
    .max_flat_workgroup_size: 256
    .name:           _ZN9rocsparseL23check_matrix_csr_deviceILj256ELj64EfllEEvT3_S1_T2_PKT1_PKS2_PKS1_S9_21rocsparse_index_base_22rocsparse_matrix_type_20rocsparse_fill_mode_23rocsparse_storage_mode_P22rocsparse_data_status_
    .private_segment_fixed_size: 0
    .sgpr_count:     27
    .sgpr_spill_count: 0
    .symbol:         _ZN9rocsparseL23check_matrix_csr_deviceILj256ELj64EfllEEvT3_S1_T2_PKT1_PKS2_PKS1_S9_21rocsparse_index_base_22rocsparse_matrix_type_20rocsparse_fill_mode_23rocsparse_storage_mode_P22rocsparse_data_status_.kd
    .uniform_work_group_size: 1
    .uses_dynamic_stack: false
    .vgpr_count:     24
    .vgpr_spill_count: 0
    .wavefront_size: 32
  - .args:
      - .offset:         0
        .size:           8
        .value_kind:     by_value
      - .offset:         8
        .size:           8
        .value_kind:     by_value
      - .offset:         16
        .size:           8
        .value_kind:     by_value
      - .actual_access:  read_only
        .address_space:  global
        .offset:         24
        .size:           8
        .value_kind:     global_buffer
      - .actual_access:  read_only
        .address_space:  global
        .offset:         32
        .size:           8
        .value_kind:     global_buffer
      - .address_space:  global
        .offset:         40
        .size:           8
        .value_kind:     global_buffer
      - .address_space:  global
        .offset:         48
        .size:           8
        .value_kind:     global_buffer
      - .offset:         56
        .size:           4
        .value_kind:     by_value
      - .offset:         60
        .size:           4
        .value_kind:     by_value
      - .offset:         64
        .size:           4
        .value_kind:     by_value
      - .offset:         68
        .size:           4
        .value_kind:     by_value
      - .address_space:  global
        .offset:         72
        .size:           8
        .value_kind:     global_buffer
    .group_segment_fixed_size: 0
    .kernarg_segment_align: 8
    .kernarg_segment_size: 80
    .language:       OpenCL C
    .language_version:
      - 2
      - 0
    .max_flat_workgroup_size: 256
    .name:           _ZN9rocsparseL23check_matrix_csr_deviceILj256ELj128EfllEEvT3_S1_T2_PKT1_PKS2_PKS1_S9_21rocsparse_index_base_22rocsparse_matrix_type_20rocsparse_fill_mode_23rocsparse_storage_mode_P22rocsparse_data_status_
    .private_segment_fixed_size: 0
    .sgpr_count:     27
    .sgpr_spill_count: 0
    .symbol:         _ZN9rocsparseL23check_matrix_csr_deviceILj256ELj128EfllEEvT3_S1_T2_PKT1_PKS2_PKS1_S9_21rocsparse_index_base_22rocsparse_matrix_type_20rocsparse_fill_mode_23rocsparse_storage_mode_P22rocsparse_data_status_.kd
    .uniform_work_group_size: 1
    .uses_dynamic_stack: false
    .vgpr_count:     24
    .vgpr_spill_count: 0
    .wavefront_size: 32
  - .args:
      - .offset:         0
        .size:           8
        .value_kind:     by_value
      - .offset:         8
        .size:           8
        .value_kind:     by_value
      - .offset:         16
        .size:           8
        .value_kind:     by_value
      - .actual_access:  read_only
        .address_space:  global
        .offset:         24
        .size:           8
        .value_kind:     global_buffer
      - .actual_access:  read_only
        .address_space:  global
        .offset:         32
        .size:           8
        .value_kind:     global_buffer
      - .address_space:  global
        .offset:         40
        .size:           8
        .value_kind:     global_buffer
      - .address_space:  global
        .offset:         48
        .size:           8
        .value_kind:     global_buffer
      - .offset:         56
        .size:           4
        .value_kind:     by_value
      - .offset:         60
        .size:           4
        .value_kind:     by_value
      - .offset:         64
        .size:           4
        .value_kind:     by_value
      - .offset:         68
        .size:           4
        .value_kind:     by_value
      - .address_space:  global
        .offset:         72
        .size:           8
        .value_kind:     global_buffer
    .group_segment_fixed_size: 0
    .kernarg_segment_align: 8
    .kernarg_segment_size: 80
    .language:       OpenCL C
    .language_version:
      - 2
      - 0
    .max_flat_workgroup_size: 256
    .name:           _ZN9rocsparseL23check_matrix_csr_deviceILj256ELj256EfllEEvT3_S1_T2_PKT1_PKS2_PKS1_S9_21rocsparse_index_base_22rocsparse_matrix_type_20rocsparse_fill_mode_23rocsparse_storage_mode_P22rocsparse_data_status_
    .private_segment_fixed_size: 0
    .sgpr_count:     29
    .sgpr_spill_count: 0
    .symbol:         _ZN9rocsparseL23check_matrix_csr_deviceILj256ELj256EfllEEvT3_S1_T2_PKT1_PKS2_PKS1_S9_21rocsparse_index_base_22rocsparse_matrix_type_20rocsparse_fill_mode_23rocsparse_storage_mode_P22rocsparse_data_status_.kd
    .uniform_work_group_size: 1
    .uses_dynamic_stack: false
    .vgpr_count:     22
    .vgpr_spill_count: 0
    .wavefront_size: 32
  - .args:
      - .offset:         0
        .size:           8
        .value_kind:     by_value
      - .offset:         8
        .size:           8
        .value_kind:     by_value
      - .offset:         16
        .size:           8
        .value_kind:     by_value
      - .actual_access:  read_only
        .address_space:  global
        .offset:         24
        .size:           8
        .value_kind:     global_buffer
      - .actual_access:  read_only
        .address_space:  global
        .offset:         32
        .size:           8
        .value_kind:     global_buffer
      - .address_space:  global
        .offset:         40
        .size:           8
        .value_kind:     global_buffer
      - .address_space:  global
        .offset:         48
        .size:           8
        .value_kind:     global_buffer
      - .offset:         56
        .size:           4
        .value_kind:     by_value
      - .offset:         60
        .size:           4
        .value_kind:     by_value
      - .offset:         64
        .size:           4
        .value_kind:     by_value
      - .offset:         68
        .size:           4
        .value_kind:     by_value
      - .address_space:  global
        .offset:         72
        .size:           8
        .value_kind:     global_buffer
    .group_segment_fixed_size: 0
    .kernarg_segment_align: 8
    .kernarg_segment_size: 80
    .language:       OpenCL C
    .language_version:
      - 2
      - 0
    .max_flat_workgroup_size: 256
    .name:           _ZN9rocsparseL23check_matrix_csr_deviceILj256ELj4EdllEEvT3_S1_T2_PKT1_PKS2_PKS1_S9_21rocsparse_index_base_22rocsparse_matrix_type_20rocsparse_fill_mode_23rocsparse_storage_mode_P22rocsparse_data_status_
    .private_segment_fixed_size: 0
    .sgpr_count:     27
    .sgpr_spill_count: 0
    .symbol:         _ZN9rocsparseL23check_matrix_csr_deviceILj256ELj4EdllEEvT3_S1_T2_PKT1_PKS2_PKS1_S9_21rocsparse_index_base_22rocsparse_matrix_type_20rocsparse_fill_mode_23rocsparse_storage_mode_P22rocsparse_data_status_.kd
    .uniform_work_group_size: 1
    .uses_dynamic_stack: false
    .vgpr_count:     24
    .vgpr_spill_count: 0
    .wavefront_size: 32
  - .args:
      - .offset:         0
        .size:           8
        .value_kind:     by_value
      - .offset:         8
        .size:           8
        .value_kind:     by_value
      - .offset:         16
        .size:           8
        .value_kind:     by_value
      - .actual_access:  read_only
        .address_space:  global
        .offset:         24
        .size:           8
        .value_kind:     global_buffer
      - .actual_access:  read_only
        .address_space:  global
        .offset:         32
        .size:           8
        .value_kind:     global_buffer
      - .address_space:  global
        .offset:         40
        .size:           8
        .value_kind:     global_buffer
      - .address_space:  global
        .offset:         48
        .size:           8
        .value_kind:     global_buffer
      - .offset:         56
        .size:           4
        .value_kind:     by_value
      - .offset:         60
        .size:           4
        .value_kind:     by_value
      - .offset:         64
        .size:           4
        .value_kind:     by_value
      - .offset:         68
        .size:           4
        .value_kind:     by_value
      - .address_space:  global
        .offset:         72
        .size:           8
        .value_kind:     global_buffer
    .group_segment_fixed_size: 0
    .kernarg_segment_align: 8
    .kernarg_segment_size: 80
    .language:       OpenCL C
    .language_version:
      - 2
      - 0
    .max_flat_workgroup_size: 256
    .name:           _ZN9rocsparseL23check_matrix_csr_deviceILj256ELj8EdllEEvT3_S1_T2_PKT1_PKS2_PKS1_S9_21rocsparse_index_base_22rocsparse_matrix_type_20rocsparse_fill_mode_23rocsparse_storage_mode_P22rocsparse_data_status_
    .private_segment_fixed_size: 0
    .sgpr_count:     27
    .sgpr_spill_count: 0
    .symbol:         _ZN9rocsparseL23check_matrix_csr_deviceILj256ELj8EdllEEvT3_S1_T2_PKT1_PKS2_PKS1_S9_21rocsparse_index_base_22rocsparse_matrix_type_20rocsparse_fill_mode_23rocsparse_storage_mode_P22rocsparse_data_status_.kd
    .uniform_work_group_size: 1
    .uses_dynamic_stack: false
    .vgpr_count:     24
    .vgpr_spill_count: 0
    .wavefront_size: 32
  - .args:
      - .offset:         0
        .size:           8
        .value_kind:     by_value
      - .offset:         8
        .size:           8
        .value_kind:     by_value
      - .offset:         16
        .size:           8
        .value_kind:     by_value
      - .actual_access:  read_only
        .address_space:  global
        .offset:         24
        .size:           8
        .value_kind:     global_buffer
      - .actual_access:  read_only
        .address_space:  global
        .offset:         32
        .size:           8
        .value_kind:     global_buffer
      - .address_space:  global
        .offset:         40
        .size:           8
        .value_kind:     global_buffer
      - .address_space:  global
        .offset:         48
        .size:           8
        .value_kind:     global_buffer
      - .offset:         56
        .size:           4
        .value_kind:     by_value
      - .offset:         60
        .size:           4
        .value_kind:     by_value
      - .offset:         64
        .size:           4
        .value_kind:     by_value
      - .offset:         68
        .size:           4
        .value_kind:     by_value
      - .address_space:  global
        .offset:         72
        .size:           8
        .value_kind:     global_buffer
    .group_segment_fixed_size: 0
    .kernarg_segment_align: 8
    .kernarg_segment_size: 80
    .language:       OpenCL C
    .language_version:
      - 2
      - 0
    .max_flat_workgroup_size: 256
    .name:           _ZN9rocsparseL23check_matrix_csr_deviceILj256ELj16EdllEEvT3_S1_T2_PKT1_PKS2_PKS1_S9_21rocsparse_index_base_22rocsparse_matrix_type_20rocsparse_fill_mode_23rocsparse_storage_mode_P22rocsparse_data_status_
    .private_segment_fixed_size: 0
    .sgpr_count:     27
    .sgpr_spill_count: 0
    .symbol:         _ZN9rocsparseL23check_matrix_csr_deviceILj256ELj16EdllEEvT3_S1_T2_PKT1_PKS2_PKS1_S9_21rocsparse_index_base_22rocsparse_matrix_type_20rocsparse_fill_mode_23rocsparse_storage_mode_P22rocsparse_data_status_.kd
    .uniform_work_group_size: 1
    .uses_dynamic_stack: false
    .vgpr_count:     24
    .vgpr_spill_count: 0
    .wavefront_size: 32
  - .args:
      - .offset:         0
        .size:           8
        .value_kind:     by_value
      - .offset:         8
        .size:           8
        .value_kind:     by_value
      - .offset:         16
        .size:           8
        .value_kind:     by_value
      - .actual_access:  read_only
        .address_space:  global
        .offset:         24
        .size:           8
        .value_kind:     global_buffer
      - .actual_access:  read_only
        .address_space:  global
        .offset:         32
        .size:           8
        .value_kind:     global_buffer
      - .address_space:  global
        .offset:         40
        .size:           8
        .value_kind:     global_buffer
      - .address_space:  global
        .offset:         48
        .size:           8
        .value_kind:     global_buffer
      - .offset:         56
        .size:           4
        .value_kind:     by_value
      - .offset:         60
        .size:           4
        .value_kind:     by_value
      - .offset:         64
        .size:           4
        .value_kind:     by_value
      - .offset:         68
        .size:           4
        .value_kind:     by_value
      - .address_space:  global
        .offset:         72
        .size:           8
        .value_kind:     global_buffer
    .group_segment_fixed_size: 0
    .kernarg_segment_align: 8
    .kernarg_segment_size: 80
    .language:       OpenCL C
    .language_version:
      - 2
      - 0
    .max_flat_workgroup_size: 256
    .name:           _ZN9rocsparseL23check_matrix_csr_deviceILj256ELj32EdllEEvT3_S1_T2_PKT1_PKS2_PKS1_S9_21rocsparse_index_base_22rocsparse_matrix_type_20rocsparse_fill_mode_23rocsparse_storage_mode_P22rocsparse_data_status_
    .private_segment_fixed_size: 0
    .sgpr_count:     27
    .sgpr_spill_count: 0
    .symbol:         _ZN9rocsparseL23check_matrix_csr_deviceILj256ELj32EdllEEvT3_S1_T2_PKT1_PKS2_PKS1_S9_21rocsparse_index_base_22rocsparse_matrix_type_20rocsparse_fill_mode_23rocsparse_storage_mode_P22rocsparse_data_status_.kd
    .uniform_work_group_size: 1
    .uses_dynamic_stack: false
    .vgpr_count:     24
    .vgpr_spill_count: 0
    .wavefront_size: 32
  - .args:
      - .offset:         0
        .size:           8
        .value_kind:     by_value
      - .offset:         8
        .size:           8
        .value_kind:     by_value
      - .offset:         16
        .size:           8
        .value_kind:     by_value
      - .actual_access:  read_only
        .address_space:  global
        .offset:         24
        .size:           8
        .value_kind:     global_buffer
      - .actual_access:  read_only
        .address_space:  global
        .offset:         32
        .size:           8
        .value_kind:     global_buffer
      - .address_space:  global
        .offset:         40
        .size:           8
        .value_kind:     global_buffer
      - .address_space:  global
        .offset:         48
        .size:           8
        .value_kind:     global_buffer
      - .offset:         56
        .size:           4
        .value_kind:     by_value
      - .offset:         60
        .size:           4
        .value_kind:     by_value
      - .offset:         64
        .size:           4
        .value_kind:     by_value
      - .offset:         68
        .size:           4
        .value_kind:     by_value
      - .address_space:  global
        .offset:         72
        .size:           8
        .value_kind:     global_buffer
    .group_segment_fixed_size: 0
    .kernarg_segment_align: 8
    .kernarg_segment_size: 80
    .language:       OpenCL C
    .language_version:
      - 2
      - 0
    .max_flat_workgroup_size: 256
    .name:           _ZN9rocsparseL23check_matrix_csr_deviceILj256ELj64EdllEEvT3_S1_T2_PKT1_PKS2_PKS1_S9_21rocsparse_index_base_22rocsparse_matrix_type_20rocsparse_fill_mode_23rocsparse_storage_mode_P22rocsparse_data_status_
    .private_segment_fixed_size: 0
    .sgpr_count:     27
    .sgpr_spill_count: 0
    .symbol:         _ZN9rocsparseL23check_matrix_csr_deviceILj256ELj64EdllEEvT3_S1_T2_PKT1_PKS2_PKS1_S9_21rocsparse_index_base_22rocsparse_matrix_type_20rocsparse_fill_mode_23rocsparse_storage_mode_P22rocsparse_data_status_.kd
    .uniform_work_group_size: 1
    .uses_dynamic_stack: false
    .vgpr_count:     24
    .vgpr_spill_count: 0
    .wavefront_size: 32
  - .args:
      - .offset:         0
        .size:           8
        .value_kind:     by_value
      - .offset:         8
        .size:           8
        .value_kind:     by_value
      - .offset:         16
        .size:           8
        .value_kind:     by_value
      - .actual_access:  read_only
        .address_space:  global
        .offset:         24
        .size:           8
        .value_kind:     global_buffer
      - .actual_access:  read_only
        .address_space:  global
        .offset:         32
        .size:           8
        .value_kind:     global_buffer
      - .address_space:  global
        .offset:         40
        .size:           8
        .value_kind:     global_buffer
      - .address_space:  global
        .offset:         48
        .size:           8
        .value_kind:     global_buffer
      - .offset:         56
        .size:           4
        .value_kind:     by_value
      - .offset:         60
        .size:           4
        .value_kind:     by_value
      - .offset:         64
        .size:           4
        .value_kind:     by_value
      - .offset:         68
        .size:           4
        .value_kind:     by_value
      - .address_space:  global
        .offset:         72
        .size:           8
        .value_kind:     global_buffer
    .group_segment_fixed_size: 0
    .kernarg_segment_align: 8
    .kernarg_segment_size: 80
    .language:       OpenCL C
    .language_version:
      - 2
      - 0
    .max_flat_workgroup_size: 256
    .name:           _ZN9rocsparseL23check_matrix_csr_deviceILj256ELj128EdllEEvT3_S1_T2_PKT1_PKS2_PKS1_S9_21rocsparse_index_base_22rocsparse_matrix_type_20rocsparse_fill_mode_23rocsparse_storage_mode_P22rocsparse_data_status_
    .private_segment_fixed_size: 0
    .sgpr_count:     27
    .sgpr_spill_count: 0
    .symbol:         _ZN9rocsparseL23check_matrix_csr_deviceILj256ELj128EdllEEvT3_S1_T2_PKT1_PKS2_PKS1_S9_21rocsparse_index_base_22rocsparse_matrix_type_20rocsparse_fill_mode_23rocsparse_storage_mode_P22rocsparse_data_status_.kd
    .uniform_work_group_size: 1
    .uses_dynamic_stack: false
    .vgpr_count:     24
    .vgpr_spill_count: 0
    .wavefront_size: 32
  - .args:
      - .offset:         0
        .size:           8
        .value_kind:     by_value
      - .offset:         8
        .size:           8
        .value_kind:     by_value
      - .offset:         16
        .size:           8
        .value_kind:     by_value
      - .actual_access:  read_only
        .address_space:  global
        .offset:         24
        .size:           8
        .value_kind:     global_buffer
      - .actual_access:  read_only
        .address_space:  global
        .offset:         32
        .size:           8
        .value_kind:     global_buffer
      - .address_space:  global
        .offset:         40
        .size:           8
        .value_kind:     global_buffer
      - .address_space:  global
        .offset:         48
        .size:           8
        .value_kind:     global_buffer
      - .offset:         56
        .size:           4
        .value_kind:     by_value
      - .offset:         60
        .size:           4
        .value_kind:     by_value
      - .offset:         64
        .size:           4
        .value_kind:     by_value
      - .offset:         68
        .size:           4
        .value_kind:     by_value
      - .address_space:  global
        .offset:         72
        .size:           8
        .value_kind:     global_buffer
    .group_segment_fixed_size: 0
    .kernarg_segment_align: 8
    .kernarg_segment_size: 80
    .language:       OpenCL C
    .language_version:
      - 2
      - 0
    .max_flat_workgroup_size: 256
    .name:           _ZN9rocsparseL23check_matrix_csr_deviceILj256ELj256EdllEEvT3_S1_T2_PKT1_PKS2_PKS1_S9_21rocsparse_index_base_22rocsparse_matrix_type_20rocsparse_fill_mode_23rocsparse_storage_mode_P22rocsparse_data_status_
    .private_segment_fixed_size: 0
    .sgpr_count:     29
    .sgpr_spill_count: 0
    .symbol:         _ZN9rocsparseL23check_matrix_csr_deviceILj256ELj256EdllEEvT3_S1_T2_PKT1_PKS2_PKS1_S9_21rocsparse_index_base_22rocsparse_matrix_type_20rocsparse_fill_mode_23rocsparse_storage_mode_P22rocsparse_data_status_.kd
    .uniform_work_group_size: 1
    .uses_dynamic_stack: false
    .vgpr_count:     22
    .vgpr_spill_count: 0
    .wavefront_size: 32
  - .args:
      - .offset:         0
        .size:           8
        .value_kind:     by_value
      - .offset:         8
        .size:           8
        .value_kind:     by_value
      - .offset:         16
        .size:           8
        .value_kind:     by_value
      - .actual_access:  read_only
        .address_space:  global
        .offset:         24
        .size:           8
        .value_kind:     global_buffer
      - .actual_access:  read_only
        .address_space:  global
        .offset:         32
        .size:           8
        .value_kind:     global_buffer
      - .address_space:  global
        .offset:         40
        .size:           8
        .value_kind:     global_buffer
      - .address_space:  global
        .offset:         48
        .size:           8
        .value_kind:     global_buffer
      - .offset:         56
        .size:           4
        .value_kind:     by_value
      - .offset:         60
        .size:           4
        .value_kind:     by_value
      - .offset:         64
        .size:           4
        .value_kind:     by_value
      - .offset:         68
        .size:           4
        .value_kind:     by_value
      - .address_space:  global
        .offset:         72
        .size:           8
        .value_kind:     global_buffer
    .group_segment_fixed_size: 0
    .kernarg_segment_align: 8
    .kernarg_segment_size: 80
    .language:       OpenCL C
    .language_version:
      - 2
      - 0
    .max_flat_workgroup_size: 256
    .name:           _ZN9rocsparseL23check_matrix_csr_deviceILj256ELj4E21rocsparse_complex_numIfEllEEvT3_S3_T2_PKT1_PKS4_PKS3_SB_21rocsparse_index_base_22rocsparse_matrix_type_20rocsparse_fill_mode_23rocsparse_storage_mode_P22rocsparse_data_status_
    .private_segment_fixed_size: 0
    .sgpr_count:     27
    .sgpr_spill_count: 0
    .symbol:         _ZN9rocsparseL23check_matrix_csr_deviceILj256ELj4E21rocsparse_complex_numIfEllEEvT3_S3_T2_PKT1_PKS4_PKS3_SB_21rocsparse_index_base_22rocsparse_matrix_type_20rocsparse_fill_mode_23rocsparse_storage_mode_P22rocsparse_data_status_.kd
    .uniform_work_group_size: 1
    .uses_dynamic_stack: false
    .vgpr_count:     24
    .vgpr_spill_count: 0
    .wavefront_size: 32
  - .args:
      - .offset:         0
        .size:           8
        .value_kind:     by_value
      - .offset:         8
        .size:           8
        .value_kind:     by_value
      - .offset:         16
        .size:           8
        .value_kind:     by_value
      - .actual_access:  read_only
        .address_space:  global
        .offset:         24
        .size:           8
        .value_kind:     global_buffer
      - .actual_access:  read_only
        .address_space:  global
        .offset:         32
        .size:           8
        .value_kind:     global_buffer
      - .address_space:  global
        .offset:         40
        .size:           8
        .value_kind:     global_buffer
      - .address_space:  global
        .offset:         48
        .size:           8
        .value_kind:     global_buffer
      - .offset:         56
        .size:           4
        .value_kind:     by_value
      - .offset:         60
        .size:           4
        .value_kind:     by_value
      - .offset:         64
        .size:           4
        .value_kind:     by_value
      - .offset:         68
        .size:           4
        .value_kind:     by_value
      - .address_space:  global
        .offset:         72
        .size:           8
        .value_kind:     global_buffer
    .group_segment_fixed_size: 0
    .kernarg_segment_align: 8
    .kernarg_segment_size: 80
    .language:       OpenCL C
    .language_version:
      - 2
      - 0
    .max_flat_workgroup_size: 256
    .name:           _ZN9rocsparseL23check_matrix_csr_deviceILj256ELj8E21rocsparse_complex_numIfEllEEvT3_S3_T2_PKT1_PKS4_PKS3_SB_21rocsparse_index_base_22rocsparse_matrix_type_20rocsparse_fill_mode_23rocsparse_storage_mode_P22rocsparse_data_status_
    .private_segment_fixed_size: 0
    .sgpr_count:     27
    .sgpr_spill_count: 0
    .symbol:         _ZN9rocsparseL23check_matrix_csr_deviceILj256ELj8E21rocsparse_complex_numIfEllEEvT3_S3_T2_PKT1_PKS4_PKS3_SB_21rocsparse_index_base_22rocsparse_matrix_type_20rocsparse_fill_mode_23rocsparse_storage_mode_P22rocsparse_data_status_.kd
    .uniform_work_group_size: 1
    .uses_dynamic_stack: false
    .vgpr_count:     24
    .vgpr_spill_count: 0
    .wavefront_size: 32
  - .args:
      - .offset:         0
        .size:           8
        .value_kind:     by_value
      - .offset:         8
        .size:           8
        .value_kind:     by_value
      - .offset:         16
        .size:           8
        .value_kind:     by_value
      - .actual_access:  read_only
        .address_space:  global
        .offset:         24
        .size:           8
        .value_kind:     global_buffer
      - .actual_access:  read_only
        .address_space:  global
        .offset:         32
        .size:           8
        .value_kind:     global_buffer
      - .address_space:  global
        .offset:         40
        .size:           8
        .value_kind:     global_buffer
      - .address_space:  global
        .offset:         48
        .size:           8
        .value_kind:     global_buffer
      - .offset:         56
        .size:           4
        .value_kind:     by_value
      - .offset:         60
        .size:           4
        .value_kind:     by_value
      - .offset:         64
        .size:           4
        .value_kind:     by_value
      - .offset:         68
        .size:           4
        .value_kind:     by_value
      - .address_space:  global
        .offset:         72
        .size:           8
        .value_kind:     global_buffer
    .group_segment_fixed_size: 0
    .kernarg_segment_align: 8
    .kernarg_segment_size: 80
    .language:       OpenCL C
    .language_version:
      - 2
      - 0
    .max_flat_workgroup_size: 256
    .name:           _ZN9rocsparseL23check_matrix_csr_deviceILj256ELj16E21rocsparse_complex_numIfEllEEvT3_S3_T2_PKT1_PKS4_PKS3_SB_21rocsparse_index_base_22rocsparse_matrix_type_20rocsparse_fill_mode_23rocsparse_storage_mode_P22rocsparse_data_status_
    .private_segment_fixed_size: 0
    .sgpr_count:     27
    .sgpr_spill_count: 0
    .symbol:         _ZN9rocsparseL23check_matrix_csr_deviceILj256ELj16E21rocsparse_complex_numIfEllEEvT3_S3_T2_PKT1_PKS4_PKS3_SB_21rocsparse_index_base_22rocsparse_matrix_type_20rocsparse_fill_mode_23rocsparse_storage_mode_P22rocsparse_data_status_.kd
    .uniform_work_group_size: 1
    .uses_dynamic_stack: false
    .vgpr_count:     24
    .vgpr_spill_count: 0
    .wavefront_size: 32
  - .args:
      - .offset:         0
        .size:           8
        .value_kind:     by_value
      - .offset:         8
        .size:           8
        .value_kind:     by_value
      - .offset:         16
        .size:           8
        .value_kind:     by_value
      - .actual_access:  read_only
        .address_space:  global
        .offset:         24
        .size:           8
        .value_kind:     global_buffer
      - .actual_access:  read_only
        .address_space:  global
        .offset:         32
        .size:           8
        .value_kind:     global_buffer
      - .address_space:  global
        .offset:         40
        .size:           8
        .value_kind:     global_buffer
      - .address_space:  global
        .offset:         48
        .size:           8
        .value_kind:     global_buffer
      - .offset:         56
        .size:           4
        .value_kind:     by_value
      - .offset:         60
        .size:           4
        .value_kind:     by_value
      - .offset:         64
        .size:           4
        .value_kind:     by_value
      - .offset:         68
        .size:           4
        .value_kind:     by_value
      - .address_space:  global
        .offset:         72
        .size:           8
        .value_kind:     global_buffer
    .group_segment_fixed_size: 0
    .kernarg_segment_align: 8
    .kernarg_segment_size: 80
    .language:       OpenCL C
    .language_version:
      - 2
      - 0
    .max_flat_workgroup_size: 256
    .name:           _ZN9rocsparseL23check_matrix_csr_deviceILj256ELj32E21rocsparse_complex_numIfEllEEvT3_S3_T2_PKT1_PKS4_PKS3_SB_21rocsparse_index_base_22rocsparse_matrix_type_20rocsparse_fill_mode_23rocsparse_storage_mode_P22rocsparse_data_status_
    .private_segment_fixed_size: 0
    .sgpr_count:     27
    .sgpr_spill_count: 0
    .symbol:         _ZN9rocsparseL23check_matrix_csr_deviceILj256ELj32E21rocsparse_complex_numIfEllEEvT3_S3_T2_PKT1_PKS4_PKS3_SB_21rocsparse_index_base_22rocsparse_matrix_type_20rocsparse_fill_mode_23rocsparse_storage_mode_P22rocsparse_data_status_.kd
    .uniform_work_group_size: 1
    .uses_dynamic_stack: false
    .vgpr_count:     24
    .vgpr_spill_count: 0
    .wavefront_size: 32
  - .args:
      - .offset:         0
        .size:           8
        .value_kind:     by_value
      - .offset:         8
        .size:           8
        .value_kind:     by_value
      - .offset:         16
        .size:           8
        .value_kind:     by_value
      - .actual_access:  read_only
        .address_space:  global
        .offset:         24
        .size:           8
        .value_kind:     global_buffer
      - .actual_access:  read_only
        .address_space:  global
        .offset:         32
        .size:           8
        .value_kind:     global_buffer
      - .address_space:  global
        .offset:         40
        .size:           8
        .value_kind:     global_buffer
      - .address_space:  global
        .offset:         48
        .size:           8
        .value_kind:     global_buffer
      - .offset:         56
        .size:           4
        .value_kind:     by_value
      - .offset:         60
        .size:           4
        .value_kind:     by_value
      - .offset:         64
        .size:           4
        .value_kind:     by_value
      - .offset:         68
        .size:           4
        .value_kind:     by_value
      - .address_space:  global
        .offset:         72
        .size:           8
        .value_kind:     global_buffer
    .group_segment_fixed_size: 0
    .kernarg_segment_align: 8
    .kernarg_segment_size: 80
    .language:       OpenCL C
    .language_version:
      - 2
      - 0
    .max_flat_workgroup_size: 256
    .name:           _ZN9rocsparseL23check_matrix_csr_deviceILj256ELj64E21rocsparse_complex_numIfEllEEvT3_S3_T2_PKT1_PKS4_PKS3_SB_21rocsparse_index_base_22rocsparse_matrix_type_20rocsparse_fill_mode_23rocsparse_storage_mode_P22rocsparse_data_status_
    .private_segment_fixed_size: 0
    .sgpr_count:     27
    .sgpr_spill_count: 0
    .symbol:         _ZN9rocsparseL23check_matrix_csr_deviceILj256ELj64E21rocsparse_complex_numIfEllEEvT3_S3_T2_PKT1_PKS4_PKS3_SB_21rocsparse_index_base_22rocsparse_matrix_type_20rocsparse_fill_mode_23rocsparse_storage_mode_P22rocsparse_data_status_.kd
    .uniform_work_group_size: 1
    .uses_dynamic_stack: false
    .vgpr_count:     24
    .vgpr_spill_count: 0
    .wavefront_size: 32
  - .args:
      - .offset:         0
        .size:           8
        .value_kind:     by_value
      - .offset:         8
        .size:           8
        .value_kind:     by_value
      - .offset:         16
        .size:           8
        .value_kind:     by_value
      - .actual_access:  read_only
        .address_space:  global
        .offset:         24
        .size:           8
        .value_kind:     global_buffer
      - .actual_access:  read_only
        .address_space:  global
        .offset:         32
        .size:           8
        .value_kind:     global_buffer
      - .address_space:  global
        .offset:         40
        .size:           8
        .value_kind:     global_buffer
      - .address_space:  global
        .offset:         48
        .size:           8
        .value_kind:     global_buffer
      - .offset:         56
        .size:           4
        .value_kind:     by_value
      - .offset:         60
        .size:           4
        .value_kind:     by_value
      - .offset:         64
        .size:           4
        .value_kind:     by_value
      - .offset:         68
        .size:           4
        .value_kind:     by_value
      - .address_space:  global
        .offset:         72
        .size:           8
        .value_kind:     global_buffer
    .group_segment_fixed_size: 0
    .kernarg_segment_align: 8
    .kernarg_segment_size: 80
    .language:       OpenCL C
    .language_version:
      - 2
      - 0
    .max_flat_workgroup_size: 256
    .name:           _ZN9rocsparseL23check_matrix_csr_deviceILj256ELj128E21rocsparse_complex_numIfEllEEvT3_S3_T2_PKT1_PKS4_PKS3_SB_21rocsparse_index_base_22rocsparse_matrix_type_20rocsparse_fill_mode_23rocsparse_storage_mode_P22rocsparse_data_status_
    .private_segment_fixed_size: 0
    .sgpr_count:     27
    .sgpr_spill_count: 0
    .symbol:         _ZN9rocsparseL23check_matrix_csr_deviceILj256ELj128E21rocsparse_complex_numIfEllEEvT3_S3_T2_PKT1_PKS4_PKS3_SB_21rocsparse_index_base_22rocsparse_matrix_type_20rocsparse_fill_mode_23rocsparse_storage_mode_P22rocsparse_data_status_.kd
    .uniform_work_group_size: 1
    .uses_dynamic_stack: false
    .vgpr_count:     24
    .vgpr_spill_count: 0
    .wavefront_size: 32
  - .args:
      - .offset:         0
        .size:           8
        .value_kind:     by_value
      - .offset:         8
        .size:           8
        .value_kind:     by_value
      - .offset:         16
        .size:           8
        .value_kind:     by_value
      - .actual_access:  read_only
        .address_space:  global
        .offset:         24
        .size:           8
        .value_kind:     global_buffer
      - .actual_access:  read_only
        .address_space:  global
        .offset:         32
        .size:           8
        .value_kind:     global_buffer
      - .address_space:  global
        .offset:         40
        .size:           8
        .value_kind:     global_buffer
      - .address_space:  global
        .offset:         48
        .size:           8
        .value_kind:     global_buffer
      - .offset:         56
        .size:           4
        .value_kind:     by_value
      - .offset:         60
        .size:           4
        .value_kind:     by_value
      - .offset:         64
        .size:           4
        .value_kind:     by_value
      - .offset:         68
        .size:           4
        .value_kind:     by_value
      - .address_space:  global
        .offset:         72
        .size:           8
        .value_kind:     global_buffer
    .group_segment_fixed_size: 0
    .kernarg_segment_align: 8
    .kernarg_segment_size: 80
    .language:       OpenCL C
    .language_version:
      - 2
      - 0
    .max_flat_workgroup_size: 256
    .name:           _ZN9rocsparseL23check_matrix_csr_deviceILj256ELj256E21rocsparse_complex_numIfEllEEvT3_S3_T2_PKT1_PKS4_PKS3_SB_21rocsparse_index_base_22rocsparse_matrix_type_20rocsparse_fill_mode_23rocsparse_storage_mode_P22rocsparse_data_status_
    .private_segment_fixed_size: 0
    .sgpr_count:     29
    .sgpr_spill_count: 0
    .symbol:         _ZN9rocsparseL23check_matrix_csr_deviceILj256ELj256E21rocsparse_complex_numIfEllEEvT3_S3_T2_PKT1_PKS4_PKS3_SB_21rocsparse_index_base_22rocsparse_matrix_type_20rocsparse_fill_mode_23rocsparse_storage_mode_P22rocsparse_data_status_.kd
    .uniform_work_group_size: 1
    .uses_dynamic_stack: false
    .vgpr_count:     22
    .vgpr_spill_count: 0
    .wavefront_size: 32
  - .args:
      - .offset:         0
        .size:           8
        .value_kind:     by_value
      - .offset:         8
        .size:           8
        .value_kind:     by_value
      - .offset:         16
        .size:           8
        .value_kind:     by_value
      - .actual_access:  read_only
        .address_space:  global
        .offset:         24
        .size:           8
        .value_kind:     global_buffer
      - .actual_access:  read_only
        .address_space:  global
        .offset:         32
        .size:           8
        .value_kind:     global_buffer
      - .address_space:  global
        .offset:         40
        .size:           8
        .value_kind:     global_buffer
      - .address_space:  global
        .offset:         48
        .size:           8
        .value_kind:     global_buffer
      - .offset:         56
        .size:           4
        .value_kind:     by_value
      - .offset:         60
        .size:           4
        .value_kind:     by_value
      - .offset:         64
        .size:           4
        .value_kind:     by_value
      - .offset:         68
        .size:           4
        .value_kind:     by_value
      - .address_space:  global
        .offset:         72
        .size:           8
        .value_kind:     global_buffer
    .group_segment_fixed_size: 0
    .kernarg_segment_align: 8
    .kernarg_segment_size: 80
    .language:       OpenCL C
    .language_version:
      - 2
      - 0
    .max_flat_workgroup_size: 256
    .name:           _ZN9rocsparseL23check_matrix_csr_deviceILj256ELj4E21rocsparse_complex_numIdEllEEvT3_S3_T2_PKT1_PKS4_PKS3_SB_21rocsparse_index_base_22rocsparse_matrix_type_20rocsparse_fill_mode_23rocsparse_storage_mode_P22rocsparse_data_status_
    .private_segment_fixed_size: 0
    .sgpr_count:     27
    .sgpr_spill_count: 0
    .symbol:         _ZN9rocsparseL23check_matrix_csr_deviceILj256ELj4E21rocsparse_complex_numIdEllEEvT3_S3_T2_PKT1_PKS4_PKS3_SB_21rocsparse_index_base_22rocsparse_matrix_type_20rocsparse_fill_mode_23rocsparse_storage_mode_P22rocsparse_data_status_.kd
    .uniform_work_group_size: 1
    .uses_dynamic_stack: false
    .vgpr_count:     24
    .vgpr_spill_count: 0
    .wavefront_size: 32
  - .args:
      - .offset:         0
        .size:           8
        .value_kind:     by_value
      - .offset:         8
        .size:           8
        .value_kind:     by_value
      - .offset:         16
        .size:           8
        .value_kind:     by_value
      - .actual_access:  read_only
        .address_space:  global
        .offset:         24
        .size:           8
        .value_kind:     global_buffer
      - .actual_access:  read_only
        .address_space:  global
        .offset:         32
        .size:           8
        .value_kind:     global_buffer
      - .address_space:  global
        .offset:         40
        .size:           8
        .value_kind:     global_buffer
      - .address_space:  global
        .offset:         48
        .size:           8
        .value_kind:     global_buffer
      - .offset:         56
        .size:           4
        .value_kind:     by_value
      - .offset:         60
        .size:           4
        .value_kind:     by_value
      - .offset:         64
        .size:           4
        .value_kind:     by_value
      - .offset:         68
        .size:           4
        .value_kind:     by_value
      - .address_space:  global
        .offset:         72
        .size:           8
        .value_kind:     global_buffer
    .group_segment_fixed_size: 0
    .kernarg_segment_align: 8
    .kernarg_segment_size: 80
    .language:       OpenCL C
    .language_version:
      - 2
      - 0
    .max_flat_workgroup_size: 256
    .name:           _ZN9rocsparseL23check_matrix_csr_deviceILj256ELj8E21rocsparse_complex_numIdEllEEvT3_S3_T2_PKT1_PKS4_PKS3_SB_21rocsparse_index_base_22rocsparse_matrix_type_20rocsparse_fill_mode_23rocsparse_storage_mode_P22rocsparse_data_status_
    .private_segment_fixed_size: 0
    .sgpr_count:     27
    .sgpr_spill_count: 0
    .symbol:         _ZN9rocsparseL23check_matrix_csr_deviceILj256ELj8E21rocsparse_complex_numIdEllEEvT3_S3_T2_PKT1_PKS4_PKS3_SB_21rocsparse_index_base_22rocsparse_matrix_type_20rocsparse_fill_mode_23rocsparse_storage_mode_P22rocsparse_data_status_.kd
    .uniform_work_group_size: 1
    .uses_dynamic_stack: false
    .vgpr_count:     24
    .vgpr_spill_count: 0
    .wavefront_size: 32
  - .args:
      - .offset:         0
        .size:           8
        .value_kind:     by_value
      - .offset:         8
        .size:           8
        .value_kind:     by_value
      - .offset:         16
        .size:           8
        .value_kind:     by_value
      - .actual_access:  read_only
        .address_space:  global
        .offset:         24
        .size:           8
        .value_kind:     global_buffer
      - .actual_access:  read_only
        .address_space:  global
        .offset:         32
        .size:           8
        .value_kind:     global_buffer
      - .address_space:  global
        .offset:         40
        .size:           8
        .value_kind:     global_buffer
      - .address_space:  global
        .offset:         48
        .size:           8
        .value_kind:     global_buffer
      - .offset:         56
        .size:           4
        .value_kind:     by_value
      - .offset:         60
        .size:           4
        .value_kind:     by_value
      - .offset:         64
        .size:           4
        .value_kind:     by_value
      - .offset:         68
        .size:           4
        .value_kind:     by_value
      - .address_space:  global
        .offset:         72
        .size:           8
        .value_kind:     global_buffer
    .group_segment_fixed_size: 0
    .kernarg_segment_align: 8
    .kernarg_segment_size: 80
    .language:       OpenCL C
    .language_version:
      - 2
      - 0
    .max_flat_workgroup_size: 256
    .name:           _ZN9rocsparseL23check_matrix_csr_deviceILj256ELj16E21rocsparse_complex_numIdEllEEvT3_S3_T2_PKT1_PKS4_PKS3_SB_21rocsparse_index_base_22rocsparse_matrix_type_20rocsparse_fill_mode_23rocsparse_storage_mode_P22rocsparse_data_status_
    .private_segment_fixed_size: 0
    .sgpr_count:     27
    .sgpr_spill_count: 0
    .symbol:         _ZN9rocsparseL23check_matrix_csr_deviceILj256ELj16E21rocsparse_complex_numIdEllEEvT3_S3_T2_PKT1_PKS4_PKS3_SB_21rocsparse_index_base_22rocsparse_matrix_type_20rocsparse_fill_mode_23rocsparse_storage_mode_P22rocsparse_data_status_.kd
    .uniform_work_group_size: 1
    .uses_dynamic_stack: false
    .vgpr_count:     24
    .vgpr_spill_count: 0
    .wavefront_size: 32
  - .args:
      - .offset:         0
        .size:           8
        .value_kind:     by_value
      - .offset:         8
        .size:           8
        .value_kind:     by_value
      - .offset:         16
        .size:           8
        .value_kind:     by_value
      - .actual_access:  read_only
        .address_space:  global
        .offset:         24
        .size:           8
        .value_kind:     global_buffer
      - .actual_access:  read_only
        .address_space:  global
        .offset:         32
        .size:           8
        .value_kind:     global_buffer
      - .address_space:  global
        .offset:         40
        .size:           8
        .value_kind:     global_buffer
      - .address_space:  global
        .offset:         48
        .size:           8
        .value_kind:     global_buffer
      - .offset:         56
        .size:           4
        .value_kind:     by_value
      - .offset:         60
        .size:           4
        .value_kind:     by_value
      - .offset:         64
        .size:           4
        .value_kind:     by_value
      - .offset:         68
        .size:           4
        .value_kind:     by_value
      - .address_space:  global
        .offset:         72
        .size:           8
        .value_kind:     global_buffer
    .group_segment_fixed_size: 0
    .kernarg_segment_align: 8
    .kernarg_segment_size: 80
    .language:       OpenCL C
    .language_version:
      - 2
      - 0
    .max_flat_workgroup_size: 256
    .name:           _ZN9rocsparseL23check_matrix_csr_deviceILj256ELj32E21rocsparse_complex_numIdEllEEvT3_S3_T2_PKT1_PKS4_PKS3_SB_21rocsparse_index_base_22rocsparse_matrix_type_20rocsparse_fill_mode_23rocsparse_storage_mode_P22rocsparse_data_status_
    .private_segment_fixed_size: 0
    .sgpr_count:     27
    .sgpr_spill_count: 0
    .symbol:         _ZN9rocsparseL23check_matrix_csr_deviceILj256ELj32E21rocsparse_complex_numIdEllEEvT3_S3_T2_PKT1_PKS4_PKS3_SB_21rocsparse_index_base_22rocsparse_matrix_type_20rocsparse_fill_mode_23rocsparse_storage_mode_P22rocsparse_data_status_.kd
    .uniform_work_group_size: 1
    .uses_dynamic_stack: false
    .vgpr_count:     24
    .vgpr_spill_count: 0
    .wavefront_size: 32
  - .args:
      - .offset:         0
        .size:           8
        .value_kind:     by_value
      - .offset:         8
        .size:           8
        .value_kind:     by_value
      - .offset:         16
        .size:           8
        .value_kind:     by_value
      - .actual_access:  read_only
        .address_space:  global
        .offset:         24
        .size:           8
        .value_kind:     global_buffer
      - .actual_access:  read_only
        .address_space:  global
        .offset:         32
        .size:           8
        .value_kind:     global_buffer
      - .address_space:  global
        .offset:         40
        .size:           8
        .value_kind:     global_buffer
      - .address_space:  global
        .offset:         48
        .size:           8
        .value_kind:     global_buffer
      - .offset:         56
        .size:           4
        .value_kind:     by_value
      - .offset:         60
        .size:           4
        .value_kind:     by_value
      - .offset:         64
        .size:           4
        .value_kind:     by_value
      - .offset:         68
        .size:           4
        .value_kind:     by_value
      - .address_space:  global
        .offset:         72
        .size:           8
        .value_kind:     global_buffer
    .group_segment_fixed_size: 0
    .kernarg_segment_align: 8
    .kernarg_segment_size: 80
    .language:       OpenCL C
    .language_version:
      - 2
      - 0
    .max_flat_workgroup_size: 256
    .name:           _ZN9rocsparseL23check_matrix_csr_deviceILj256ELj64E21rocsparse_complex_numIdEllEEvT3_S3_T2_PKT1_PKS4_PKS3_SB_21rocsparse_index_base_22rocsparse_matrix_type_20rocsparse_fill_mode_23rocsparse_storage_mode_P22rocsparse_data_status_
    .private_segment_fixed_size: 0
    .sgpr_count:     27
    .sgpr_spill_count: 0
    .symbol:         _ZN9rocsparseL23check_matrix_csr_deviceILj256ELj64E21rocsparse_complex_numIdEllEEvT3_S3_T2_PKT1_PKS4_PKS3_SB_21rocsparse_index_base_22rocsparse_matrix_type_20rocsparse_fill_mode_23rocsparse_storage_mode_P22rocsparse_data_status_.kd
    .uniform_work_group_size: 1
    .uses_dynamic_stack: false
    .vgpr_count:     24
    .vgpr_spill_count: 0
    .wavefront_size: 32
  - .args:
      - .offset:         0
        .size:           8
        .value_kind:     by_value
      - .offset:         8
        .size:           8
        .value_kind:     by_value
      - .offset:         16
        .size:           8
        .value_kind:     by_value
      - .actual_access:  read_only
        .address_space:  global
        .offset:         24
        .size:           8
        .value_kind:     global_buffer
      - .actual_access:  read_only
        .address_space:  global
        .offset:         32
        .size:           8
        .value_kind:     global_buffer
      - .address_space:  global
        .offset:         40
        .size:           8
        .value_kind:     global_buffer
      - .address_space:  global
        .offset:         48
        .size:           8
        .value_kind:     global_buffer
      - .offset:         56
        .size:           4
        .value_kind:     by_value
      - .offset:         60
        .size:           4
        .value_kind:     by_value
      - .offset:         64
        .size:           4
        .value_kind:     by_value
      - .offset:         68
        .size:           4
        .value_kind:     by_value
      - .address_space:  global
        .offset:         72
        .size:           8
        .value_kind:     global_buffer
    .group_segment_fixed_size: 0
    .kernarg_segment_align: 8
    .kernarg_segment_size: 80
    .language:       OpenCL C
    .language_version:
      - 2
      - 0
    .max_flat_workgroup_size: 256
    .name:           _ZN9rocsparseL23check_matrix_csr_deviceILj256ELj128E21rocsparse_complex_numIdEllEEvT3_S3_T2_PKT1_PKS4_PKS3_SB_21rocsparse_index_base_22rocsparse_matrix_type_20rocsparse_fill_mode_23rocsparse_storage_mode_P22rocsparse_data_status_
    .private_segment_fixed_size: 0
    .sgpr_count:     27
    .sgpr_spill_count: 0
    .symbol:         _ZN9rocsparseL23check_matrix_csr_deviceILj256ELj128E21rocsparse_complex_numIdEllEEvT3_S3_T2_PKT1_PKS4_PKS3_SB_21rocsparse_index_base_22rocsparse_matrix_type_20rocsparse_fill_mode_23rocsparse_storage_mode_P22rocsparse_data_status_.kd
    .uniform_work_group_size: 1
    .uses_dynamic_stack: false
    .vgpr_count:     24
    .vgpr_spill_count: 0
    .wavefront_size: 32
  - .args:
      - .offset:         0
        .size:           8
        .value_kind:     by_value
      - .offset:         8
        .size:           8
        .value_kind:     by_value
      - .offset:         16
        .size:           8
        .value_kind:     by_value
      - .actual_access:  read_only
        .address_space:  global
        .offset:         24
        .size:           8
        .value_kind:     global_buffer
      - .actual_access:  read_only
        .address_space:  global
        .offset:         32
        .size:           8
        .value_kind:     global_buffer
      - .address_space:  global
        .offset:         40
        .size:           8
        .value_kind:     global_buffer
      - .address_space:  global
        .offset:         48
        .size:           8
        .value_kind:     global_buffer
      - .offset:         56
        .size:           4
        .value_kind:     by_value
      - .offset:         60
        .size:           4
        .value_kind:     by_value
      - .offset:         64
        .size:           4
        .value_kind:     by_value
      - .offset:         68
        .size:           4
        .value_kind:     by_value
      - .address_space:  global
        .offset:         72
        .size:           8
        .value_kind:     global_buffer
    .group_segment_fixed_size: 0
    .kernarg_segment_align: 8
    .kernarg_segment_size: 80
    .language:       OpenCL C
    .language_version:
      - 2
      - 0
    .max_flat_workgroup_size: 256
    .name:           _ZN9rocsparseL23check_matrix_csr_deviceILj256ELj256E21rocsparse_complex_numIdEllEEvT3_S3_T2_PKT1_PKS4_PKS3_SB_21rocsparse_index_base_22rocsparse_matrix_type_20rocsparse_fill_mode_23rocsparse_storage_mode_P22rocsparse_data_status_
    .private_segment_fixed_size: 0
    .sgpr_count:     29
    .sgpr_spill_count: 0
    .symbol:         _ZN9rocsparseL23check_matrix_csr_deviceILj256ELj256E21rocsparse_complex_numIdEllEEvT3_S3_T2_PKT1_PKS4_PKS3_SB_21rocsparse_index_base_22rocsparse_matrix_type_20rocsparse_fill_mode_23rocsparse_storage_mode_P22rocsparse_data_status_.kd
    .uniform_work_group_size: 1
    .uses_dynamic_stack: false
    .vgpr_count:     22
    .vgpr_spill_count: 0
    .wavefront_size: 32
amdhsa.target:   amdgcn-amd-amdhsa--gfx1250
amdhsa.version:
  - 1
  - 2
...

	.end_amdgpu_metadata
